;; amdgpu-corpus repo=ROCm/rocFFT kind=compiled arch=gfx950 opt=O3
	.text
	.amdgcn_target "amdgcn-amd-amdhsa--gfx950"
	.amdhsa_code_object_version 6
	.protected	fft_rtc_back_len2560_factors_4_4_4_10_4_wgs_128_tpt_128_halfLds_sp_op_CI_CI_unitstride_sbrr_C2R_dirReg ; -- Begin function fft_rtc_back_len2560_factors_4_4_4_10_4_wgs_128_tpt_128_halfLds_sp_op_CI_CI_unitstride_sbrr_C2R_dirReg
	.globl	fft_rtc_back_len2560_factors_4_4_4_10_4_wgs_128_tpt_128_halfLds_sp_op_CI_CI_unitstride_sbrr_C2R_dirReg
	.p2align	8
	.type	fft_rtc_back_len2560_factors_4_4_4_10_4_wgs_128_tpt_128_halfLds_sp_op_CI_CI_unitstride_sbrr_C2R_dirReg,@function
fft_rtc_back_len2560_factors_4_4_4_10_4_wgs_128_tpt_128_halfLds_sp_op_CI_CI_unitstride_sbrr_C2R_dirReg: ; @fft_rtc_back_len2560_factors_4_4_4_10_4_wgs_128_tpt_128_halfLds_sp_op_CI_CI_unitstride_sbrr_C2R_dirReg
; %bb.0:
	s_load_dwordx4 s[4:7], s[0:1], 0x58
	s_load_dwordx4 s[8:11], s[0:1], 0x0
	;; [unrolled: 1-line block ×3, first 2 shown]
	v_mov_b32_e32 v6, s2
	v_mov_b32_e32 v4, 0
	v_mov_b32_e32 v7, v4
	s_waitcnt lgkmcnt(0)
	v_cmp_lt_u64_e64 s[2:3], s[10:11], 2
	s_and_b64 vcc, exec, s[2:3]
	v_mov_b64_e32 v[2:3], 0
	s_cbranch_vccnz .LBB0_8
; %bb.1:
	s_load_dwordx2 s[2:3], s[0:1], 0x10
	s_add_u32 s16, s14, 8
	s_addc_u32 s17, s15, 0
	s_add_u32 s18, s12, 8
	s_addc_u32 s19, s13, 0
	s_waitcnt lgkmcnt(0)
	s_add_u32 s20, s2, 8
	v_mov_b64_e32 v[2:3], 0
	s_addc_u32 s21, s3, 0
	s_mov_b64 s[22:23], 1
	v_mov_b64_e32 v[12:13], v[2:3]
.LBB0_2:                                ; =>This Inner Loop Header: Depth=1
	s_load_dwordx2 s[24:25], s[20:21], 0x0
                                        ; implicit-def: $vgpr14_vgpr15
	s_waitcnt lgkmcnt(0)
	v_or_b32_e32 v5, s25, v7
	v_cmp_ne_u64_e32 vcc, 0, v[4:5]
	s_and_saveexec_b64 s[2:3], vcc
	s_xor_b64 s[26:27], exec, s[2:3]
	s_cbranch_execz .LBB0_4
; %bb.3:                                ;   in Loop: Header=BB0_2 Depth=1
	v_cvt_f32_u32_e32 v1, s24
	v_cvt_f32_u32_e32 v5, s25
	s_sub_u32 s2, 0, s24
	s_subb_u32 s3, 0, s25
	v_fmac_f32_e32 v1, 0x4f800000, v5
	v_rcp_f32_e32 v1, v1
	s_nop 0
	v_mul_f32_e32 v1, 0x5f7ffffc, v1
	v_mul_f32_e32 v5, 0x2f800000, v1
	v_trunc_f32_e32 v5, v5
	v_fmac_f32_e32 v1, 0xcf800000, v5
	v_cvt_u32_f32_e32 v5, v5
	v_cvt_u32_f32_e32 v1, v1
	v_mul_lo_u32 v8, s2, v5
	v_mul_hi_u32 v10, s2, v1
	v_mul_lo_u32 v9, s3, v1
	v_add_u32_e32 v10, v10, v8
	v_mul_lo_u32 v14, s2, v1
	v_add_u32_e32 v15, v10, v9
	v_mul_hi_u32 v8, v1, v14
	v_mul_hi_u32 v11, v1, v15
	v_mul_lo_u32 v10, v1, v15
	v_mov_b32_e32 v9, v4
	v_lshl_add_u64 v[8:9], v[8:9], 0, v[10:11]
	v_mul_hi_u32 v11, v5, v14
	v_mul_lo_u32 v14, v5, v14
	v_add_co_u32_e32 v8, vcc, v8, v14
	v_mul_hi_u32 v10, v5, v15
	s_nop 0
	v_addc_co_u32_e32 v8, vcc, v9, v11, vcc
	v_mov_b32_e32 v9, v4
	s_nop 0
	v_addc_co_u32_e32 v11, vcc, 0, v10, vcc
	v_mul_lo_u32 v10, v5, v15
	v_lshl_add_u64 v[8:9], v[8:9], 0, v[10:11]
	v_add_co_u32_e32 v1, vcc, v1, v8
	v_mul_lo_u32 v10, s2, v1
	s_nop 0
	v_addc_co_u32_e32 v5, vcc, v5, v9, vcc
	v_mul_lo_u32 v8, s2, v5
	v_mul_hi_u32 v9, s2, v1
	v_add_u32_e32 v8, v9, v8
	v_mul_lo_u32 v9, s3, v1
	v_add_u32_e32 v14, v8, v9
	v_mul_hi_u32 v16, v5, v10
	v_mul_lo_u32 v17, v5, v10
	v_mul_hi_u32 v9, v1, v14
	v_mul_lo_u32 v8, v1, v14
	v_mul_hi_u32 v10, v1, v10
	v_mov_b32_e32 v11, v4
	v_lshl_add_u64 v[8:9], v[10:11], 0, v[8:9]
	v_add_co_u32_e32 v8, vcc, v8, v17
	v_mul_hi_u32 v15, v5, v14
	s_nop 0
	v_addc_co_u32_e32 v8, vcc, v9, v16, vcc
	v_mul_lo_u32 v10, v5, v14
	s_nop 0
	v_addc_co_u32_e32 v11, vcc, 0, v15, vcc
	v_mov_b32_e32 v9, v4
	v_lshl_add_u64 v[8:9], v[8:9], 0, v[10:11]
	v_add_co_u32_e32 v1, vcc, v1, v8
	v_mul_hi_u32 v10, v6, v1
	s_nop 0
	v_addc_co_u32_e32 v5, vcc, v5, v9, vcc
	v_mad_u64_u32 v[8:9], s[2:3], v6, v5, 0
	v_mov_b32_e32 v11, v4
	v_lshl_add_u64 v[8:9], v[10:11], 0, v[8:9]
	v_mad_u64_u32 v[14:15], s[2:3], v7, v1, 0
	v_add_co_u32_e32 v1, vcc, v8, v14
	v_mad_u64_u32 v[10:11], s[2:3], v7, v5, 0
	s_nop 0
	v_addc_co_u32_e32 v8, vcc, v9, v15, vcc
	v_mov_b32_e32 v9, v4
	s_nop 0
	v_addc_co_u32_e32 v11, vcc, 0, v11, vcc
	v_lshl_add_u64 v[8:9], v[8:9], 0, v[10:11]
	v_mul_lo_u32 v1, s25, v8
	v_mul_lo_u32 v5, s24, v9
	v_mad_u64_u32 v[10:11], s[2:3], s24, v8, 0
	v_add3_u32 v1, v11, v5, v1
	v_sub_u32_e32 v5, v7, v1
	v_mov_b32_e32 v11, s25
	v_sub_co_u32_e32 v16, vcc, v6, v10
	v_lshl_add_u64 v[14:15], v[8:9], 0, 1
	s_nop 0
	v_subb_co_u32_e64 v5, s[2:3], v5, v11, vcc
	v_subrev_co_u32_e64 v10, s[2:3], s24, v16
	v_subb_co_u32_e32 v1, vcc, v7, v1, vcc
	s_nop 0
	v_subbrev_co_u32_e64 v5, s[2:3], 0, v5, s[2:3]
	v_cmp_le_u32_e64 s[2:3], s25, v5
	v_cmp_le_u32_e32 vcc, s25, v1
	s_nop 0
	v_cndmask_b32_e64 v11, 0, -1, s[2:3]
	v_cmp_le_u32_e64 s[2:3], s24, v10
	s_nop 1
	v_cndmask_b32_e64 v10, 0, -1, s[2:3]
	v_cmp_eq_u32_e64 s[2:3], s25, v5
	s_nop 1
	v_cndmask_b32_e64 v5, v11, v10, s[2:3]
	v_lshl_add_u64 v[10:11], v[8:9], 0, 2
	v_cmp_ne_u32_e64 s[2:3], 0, v5
	s_nop 1
	v_cndmask_b32_e64 v5, v15, v11, s[2:3]
	v_cndmask_b32_e64 v11, 0, -1, vcc
	v_cmp_le_u32_e32 vcc, s24, v16
	s_nop 1
	v_cndmask_b32_e64 v15, 0, -1, vcc
	v_cmp_eq_u32_e32 vcc, s25, v1
	s_nop 1
	v_cndmask_b32_e32 v1, v11, v15, vcc
	v_cmp_ne_u32_e32 vcc, 0, v1
	v_cndmask_b32_e64 v1, v14, v10, s[2:3]
	s_nop 0
	v_cndmask_b32_e32 v15, v9, v5, vcc
	v_cndmask_b32_e32 v14, v8, v1, vcc
.LBB0_4:                                ;   in Loop: Header=BB0_2 Depth=1
	s_andn2_saveexec_b64 s[2:3], s[26:27]
	s_cbranch_execz .LBB0_6
; %bb.5:                                ;   in Loop: Header=BB0_2 Depth=1
	v_cvt_f32_u32_e32 v1, s24
	s_sub_i32 s26, 0, s24
	v_mov_b32_e32 v15, v4
	v_rcp_iflag_f32_e32 v1, v1
	s_nop 0
	v_mul_f32_e32 v1, 0x4f7ffffe, v1
	v_cvt_u32_f32_e32 v1, v1
	v_mul_lo_u32 v5, s26, v1
	v_mul_hi_u32 v5, v1, v5
	v_add_u32_e32 v1, v1, v5
	v_mul_hi_u32 v1, v6, v1
	v_mul_lo_u32 v5, v1, s24
	v_sub_u32_e32 v5, v6, v5
	v_add_u32_e32 v8, 1, v1
	v_subrev_u32_e32 v9, s24, v5
	v_cmp_le_u32_e32 vcc, s24, v5
	s_nop 1
	v_cndmask_b32_e32 v5, v5, v9, vcc
	v_cndmask_b32_e32 v1, v1, v8, vcc
	v_add_u32_e32 v8, 1, v1
	v_cmp_le_u32_e32 vcc, s24, v5
	s_nop 1
	v_cndmask_b32_e32 v14, v1, v8, vcc
.LBB0_6:                                ;   in Loop: Header=BB0_2 Depth=1
	s_or_b64 exec, exec, s[2:3]
	v_mad_u64_u32 v[8:9], s[2:3], v14, s24, 0
	s_load_dwordx2 s[2:3], s[18:19], 0x0
	v_mul_lo_u32 v1, v15, s24
	v_mul_lo_u32 v5, v14, s25
	s_load_dwordx2 s[24:25], s[16:17], 0x0
	s_add_u32 s22, s22, 1
	v_add3_u32 v1, v9, v5, v1
	v_sub_co_u32_e32 v5, vcc, v6, v8
	s_addc_u32 s23, s23, 0
	s_nop 0
	v_subb_co_u32_e32 v1, vcc, v7, v1, vcc
	s_add_u32 s16, s16, 8
	s_waitcnt lgkmcnt(0)
	v_mul_lo_u32 v6, s2, v1
	v_mul_lo_u32 v7, s3, v5
	v_mad_u64_u32 v[2:3], s[2:3], s2, v5, v[2:3]
	s_addc_u32 s17, s17, 0
	v_add3_u32 v3, v7, v3, v6
	v_mul_lo_u32 v1, s24, v1
	v_mul_lo_u32 v6, s25, v5
	v_mad_u64_u32 v[12:13], s[2:3], s24, v5, v[12:13]
	s_add_u32 s18, s18, 8
	v_add3_u32 v13, v6, v13, v1
	s_addc_u32 s19, s19, 0
	v_mov_b64_e32 v[6:7], s[10:11]
	s_add_u32 s20, s20, 8
	v_cmp_ge_u64_e32 vcc, s[22:23], v[6:7]
	s_addc_u32 s21, s21, 0
	s_cbranch_vccnz .LBB0_9
; %bb.7:                                ;   in Loop: Header=BB0_2 Depth=1
	v_mov_b64_e32 v[6:7], v[14:15]
	s_branch .LBB0_2
.LBB0_8:
	v_mov_b64_e32 v[12:13], v[2:3]
	v_mov_b64_e32 v[14:15], v[6:7]
.LBB0_9:
	s_load_dwordx2 s[18:19], s[0:1], 0x28
	s_lshl_b64 s[16:17], s[10:11], 3
	s_add_u32 s2, s14, s16
	s_addc_u32 s3, s15, s17
                                        ; implicit-def: $vgpr16
	s_waitcnt lgkmcnt(0)
	v_cmp_gt_u64_e64 s[0:1], s[18:19], v[14:15]
	v_cmp_le_u64_e32 vcc, s[18:19], v[14:15]
	s_and_saveexec_b64 s[10:11], vcc
	s_xor_b64 s[10:11], exec, s[10:11]
; %bb.10:
	v_mov_b32_e32 v16, v0
                                        ; implicit-def: $vgpr2_vgpr3
; %bb.11:
	s_or_saveexec_b64 s[10:11], s[10:11]
	s_load_dwordx2 s[2:3], s[2:3], 0x0
	s_xor_b64 exec, exec, s[10:11]
	s_cbranch_execz .LBB0_15
; %bb.12:
	s_add_u32 s12, s12, s16
	s_addc_u32 s13, s13, s17
	s_load_dwordx2 s[12:13], s[12:13], 0x0
	v_lshlrev_b32_e32 v4, 3, v0
	v_or_b32_e32 v20, 0x1400, v4
	v_or_b32_e32 v22, 0x1800, v4
	;; [unrolled: 1-line block ×3, first 2 shown]
	s_waitcnt lgkmcnt(0)
	v_mul_lo_u32 v1, s13, v14
	v_mul_lo_u32 v5, s12, v15
	v_mad_u64_u32 v[6:7], s[12:13], s12, v14, 0
	v_add3_u32 v7, v7, v5, v1
	v_lshl_add_u64 v[6:7], v[6:7], 3, s[4:5]
	v_lshl_add_u64 v[2:3], v[2:3], 3, v[6:7]
	v_mov_b32_e32 v5, 0
	v_lshl_add_u64 v[6:7], v[2:3], 0, v[4:5]
	global_load_dwordx2 v[8:9], v[6:7], off
	global_load_dwordx2 v[10:11], v[6:7], off offset:1024
	global_load_dwordx2 v[16:17], v[6:7], off offset:2048
	;; [unrolled: 1-line block ×3, first 2 shown]
	v_or_b32_e32 v6, 0x1000, v4
	v_mov_b32_e32 v7, v5
	v_lshl_add_u64 v[6:7], v[2:3], 0, v[6:7]
	v_mov_b32_e32 v21, v5
	v_mov_b32_e32 v23, v5
	;; [unrolled: 1-line block ×3, first 2 shown]
	v_lshl_add_u64 v[20:21], v[2:3], 0, v[20:21]
	v_lshl_add_u64 v[22:23], v[2:3], 0, v[22:23]
	v_lshl_add_u64 v[26:27], v[2:3], 0, v[24:25]
	global_load_dwordx2 v[28:29], v[6:7], off
	global_load_dwordx2 v[30:31], v[20:21], off
	;; [unrolled: 1-line block ×4, first 2 shown]
	v_or_b32_e32 v6, 0x2000, v4
	v_mov_b32_e32 v7, v5
	v_lshl_add_u64 v[6:7], v[2:3], 0, v[6:7]
	v_or_b32_e32 v20, 0x2400, v4
	v_mov_b32_e32 v21, v5
	v_or_b32_e32 v22, 0x2800, v4
	v_mov_b32_e32 v23, v5
	;; [unrolled: 2-line block ×3, first 2 shown]
	v_lshl_add_u64 v[20:21], v[2:3], 0, v[20:21]
	v_lshl_add_u64 v[22:23], v[2:3], 0, v[22:23]
	;; [unrolled: 1-line block ×3, first 2 shown]
	global_load_dwordx2 v[36:37], v[6:7], off
	global_load_dwordx2 v[38:39], v[20:21], off
	global_load_dwordx2 v[40:41], v[22:23], off
	global_load_dwordx2 v[42:43], v[26:27], off
	v_or_b32_e32 v6, 0x3000, v4
	v_mov_b32_e32 v7, v5
	v_lshl_add_u64 v[6:7], v[2:3], 0, v[6:7]
	v_or_b32_e32 v20, 0x3400, v4
	v_mov_b32_e32 v21, v5
	v_or_b32_e32 v22, 0x3800, v4
	v_mov_b32_e32 v23, v5
	;; [unrolled: 2-line block ×3, first 2 shown]
	v_lshl_add_u64 v[20:21], v[2:3], 0, v[20:21]
	v_lshl_add_u64 v[22:23], v[2:3], 0, v[22:23]
	v_lshl_add_u64 v[44:45], v[2:3], 0, v[26:27]
	global_load_dwordx2 v[46:47], v[6:7], off
	global_load_dwordx2 v[48:49], v[20:21], off
	;; [unrolled: 1-line block ×4, first 2 shown]
	v_or_b32_e32 v6, 0x4000, v4
	v_mov_b32_e32 v7, v5
	v_add_u32_e32 v1, 0, v4
	v_lshl_add_u64 v[6:7], v[2:3], 0, v[6:7]
	v_or_b32_e32 v20, 0x4400, v4
	v_mov_b32_e32 v21, v5
	v_or_b32_e32 v22, 0x4800, v4
	v_mov_b32_e32 v23, v5
	v_or_b32_e32 v4, 0x4c00, v4
	v_lshl_add_u64 v[20:21], v[2:3], 0, v[20:21]
	v_lshl_add_u64 v[22:23], v[2:3], 0, v[22:23]
	;; [unrolled: 1-line block ×3, first 2 shown]
	global_load_dwordx2 v[54:55], v[6:7], off
	global_load_dwordx2 v[56:57], v[20:21], off
	global_load_dwordx2 v[58:59], v[22:23], off
	global_load_dwordx2 v[60:61], v[44:45], off
	s_movk_i32 s4, 0x7f
	v_add_u32_e32 v4, 0, v24
	v_add_u32_e32 v6, 0, v26
	v_cmp_eq_u32_e32 vcc, s4, v0
	s_waitcnt vmcnt(18)
	ds_write2st64_b64 v1, v[8:9], v[10:11] offset1:2
	s_waitcnt vmcnt(16)
	ds_write2st64_b64 v1, v[16:17], v[18:19] offset0:4 offset1:6
	s_waitcnt vmcnt(14)
	ds_write2st64_b64 v1, v[28:29], v[30:31] offset0:8 offset1:10
	s_waitcnt vmcnt(12)
	ds_write_b64 v4, v[34:35]
	s_waitcnt vmcnt(11)
	ds_write2st64_b64 v1, v[32:33], v[36:37] offset0:12 offset1:16
	s_waitcnt vmcnt(9)
	ds_write2st64_b64 v1, v[38:39], v[40:41] offset0:18 offset1:20
	;; [unrolled: 2-line block ×4, first 2 shown]
	s_waitcnt vmcnt(4)
	ds_write_b64 v6, v[52:53]
	s_waitcnt vmcnt(2)
	ds_write2st64_b64 v1, v[54:55], v[56:57] offset0:32 offset1:34
	s_waitcnt vmcnt(0)
	ds_write2st64_b64 v1, v[58:59], v[60:61] offset0:36 offset1:38
	v_mov_b32_e32 v16, v0
	s_and_saveexec_b64 s[4:5], vcc
	s_cbranch_execz .LBB0_14
; %bb.13:
	v_add_co_u32_e32 v2, vcc, 0x5000, v2
	v_mov_b32_e32 v16, 0x7f
	s_nop 0
	v_addc_co_u32_e32 v3, vcc, 0, v3, vcc
	global_load_dwordx2 v[2:3], v[2:3], off
	s_waitcnt vmcnt(0)
	ds_write_b64 v5, v[2:3] offset:20480
.LBB0_14:
	s_or_b64 exec, exec, s[4:5]
.LBB0_15:
	s_or_b64 exec, exec, s[10:11]
	v_lshlrev_b32_e32 v1, 3, v16
	v_add_u32_e32 v50, 0, v1
	s_waitcnt lgkmcnt(0)
	s_barrier
	v_sub_u32_e32 v1, 0, v1
	ds_read_b32 v3, v50
	ds_read_b32 v4, v1 offset:20480
	s_add_u32 s4, s8, 0x4fe0
	s_addc_u32 s5, s9, 0
	v_cmp_ne_u32_e32 vcc, 0, v16
	s_waitcnt lgkmcnt(0)
	v_add_f32_e32 v2, v4, v3
	v_sub_f32_e32 v3, v3, v4
                                        ; implicit-def: $vgpr4_vgpr5
	s_and_saveexec_b64 s[10:11], vcc
	s_xor_b64 s[10:11], exec, s[10:11]
	s_cbranch_execz .LBB0_17
; %bb.16:
	v_mov_b32_e32 v17, 0
	v_lshl_add_u64 v[4:5], v[16:17], 3, s[4:5]
	global_load_dwordx2 v[6:7], v[4:5], off
	ds_read_b32 v11, v1 offset:20484
	ds_read_b32 v18, v50 offset:4
	v_mov_b32_e32 v8, v3
	v_mov_b32_e32 v10, v2
	;; [unrolled: 1-line block ×3, first 2 shown]
	v_mov_b64_e32 v[4:5], v[16:17]
	s_waitcnt lgkmcnt(0)
	v_add_f32_e32 v9, v11, v18
	v_sub_f32_e32 v11, v18, v11
	v_mov_b32_e32 v18, v9
	s_waitcnt vmcnt(0)
	v_pk_mul_f32 v[20:21], v[8:9], v[6:7] op_sel:[0,1]
	v_pk_fma_f32 v[8:9], v[8:9], v[6:7], v[10:11] op_sel:[0,1,0]
	v_mov_b32_e32 v3, v21
	v_mov_b32_e32 v21, v11
	v_pk_fma_f32 v[22:23], v[6:7], v[18:19], v[8:9] neg_lo:[1,0,0] neg_hi:[1,0,0]
	v_pk_fma_f32 v[8:9], v[6:7], v[18:19], v[8:9] op_sel_hi:[0,1,1]
	v_pk_add_f32 v[2:3], v[2:3], v[20:21] neg_lo:[0,1] neg_hi:[0,1]
	v_mov_b32_e32 v23, v9
	v_pk_fma_f32 v[2:3], v[6:7], v[18:19], v[2:3] op_sel_hi:[0,1,1]
	ds_write_b64 v1, v[2:3] offset:20480
	v_mov_b64_e32 v[2:3], v[22:23]
.LBB0_17:
	s_andn2_saveexec_b64 s[10:11], s[10:11]
	s_cbranch_execz .LBB0_19
; %bb.18:
	v_mov_b32_e32 v6, 0
	ds_read_b64 v[4:5], v6 offset:10240
	s_mov_b32 s12, 2.0
	s_mov_b32 s13, -2.0
	s_waitcnt lgkmcnt(0)
	v_pk_mul_f32 v[4:5], v[4:5], s[12:13]
	ds_write_b64 v6, v[4:5] offset:10240
	v_mov_b64_e32 v[4:5], 0
.LBB0_19:
	s_or_b64 exec, exec, s[10:11]
	v_lshl_add_u64 v[4:5], v[4:5], 3, s[4:5]
	global_load_dwordx2 v[6:7], v[4:5], off offset:1024
	global_load_dwordx2 v[8:9], v[4:5], off offset:2048
	;; [unrolled: 1-line block ×3, first 2 shown]
	v_or_b32_e32 v18, 0x200, v16
	v_mov_b32_e32 v19, 0
	ds_write_b64 v50, v[2:3]
	v_lshl_add_u64 v[20:21], v[18:19], 3, s[4:5]
	ds_read_b64 v[2:3], v50 offset:1024
	ds_read_b64 v[4:5], v1 offset:19456
	global_load_dwordx2 v[20:21], v[20:21], off
	v_mad_u32_u24 v56, v16, 24, v50
	v_or_b32_e32 v51, 0x100, v16
	v_and_b32_e32 v78, 3, v0
	s_waitcnt lgkmcnt(0)
	v_pk_add_f32 v[22:23], v[2:3], v[4:5] neg_lo:[0,1] neg_hi:[0,1]
	v_pk_add_f32 v[2:3], v[2:3], v[4:5]
	v_mov_b32_e32 v4, v22
	v_mov_b32_e32 v5, v3
	;; [unrolled: 1-line block ×6, first 2 shown]
	v_lshlrev_b32_e32 v79, 2, v16
	v_lshlrev_b32_e32 v81, 2, v18
	s_mov_b32 s10, 0x3f737871
	s_mov_b32 s16, 0x3f4f1bbd
	;; [unrolled: 1-line block ×7, first 2 shown]
	s_waitcnt vmcnt(3)
	v_pk_mul_f32 v[28:29], v[4:5], v[6:7] op_sel:[0,1]
	v_pk_fma_f32 v[4:5], v[4:5], v[6:7], v[24:25] op_sel:[0,1,0]
	v_mov_b32_e32 v3, v29
	v_mov_b32_e32 v29, v23
	v_pk_fma_f32 v[24:25], v[6:7], v[26:27], v[4:5] neg_lo:[1,0,0] neg_hi:[1,0,0]
	v_pk_fma_f32 v[4:5], v[6:7], v[26:27], v[4:5] op_sel_hi:[0,1,1]
	v_pk_add_f32 v[2:3], v[2:3], v[28:29] neg_lo:[0,1] neg_hi:[0,1]
	v_mov_b32_e32 v25, v5
	v_pk_fma_f32 v[2:3], v[6:7], v[26:27], v[2:3] op_sel_hi:[0,1,1]
	v_or_b32_e32 v6, 0x280, v16
	v_mov_b32_e32 v7, v19
	ds_write_b64 v50, v[24:25] offset:1024
	ds_write_b64 v1, v[2:3] offset:19456
	v_lshl_add_u64 v[6:7], v[6:7], 3, s[4:5]
	ds_read_b64 v[2:3], v1 offset:18432
	ds_read_b64 v[4:5], v50 offset:2048
	global_load_dwordx2 v[6:7], v[6:7], off
	s_waitcnt lgkmcnt(0)
	v_pk_add_f32 v[22:23], v[4:5], v[2:3] neg_lo:[0,1] neg_hi:[0,1]
	v_pk_add_f32 v[2:3], v[4:5], v[2:3]
	v_mov_b32_e32 v4, v22
	v_mov_b32_e32 v5, v3
	;; [unrolled: 1-line block ×4, first 2 shown]
	s_waitcnt vmcnt(3)
	v_pk_mul_f32 v[28:29], v[4:5], v[8:9] op_sel:[0,1]
	v_mov_b32_e32 v26, v3
	v_mov_b32_e32 v27, v22
	v_pk_fma_f32 v[4:5], v[4:5], v[8:9], v[24:25] op_sel:[0,1,0]
	v_mov_b32_e32 v3, v29
	v_mov_b32_e32 v29, v23
	v_pk_fma_f32 v[24:25], v[8:9], v[26:27], v[4:5] neg_lo:[1,0,0] neg_hi:[1,0,0]
	v_pk_fma_f32 v[4:5], v[8:9], v[26:27], v[4:5] op_sel_hi:[0,1,1]
	v_pk_add_f32 v[2:3], v[2:3], v[28:29] neg_lo:[0,1] neg_hi:[0,1]
	v_mov_b32_e32 v25, v5
	v_pk_fma_f32 v[2:3], v[8:9], v[26:27], v[2:3] op_sel_hi:[0,1,1]
	v_or_b32_e32 v8, 0x300, v16
	v_mov_b32_e32 v9, v19
	ds_write_b64 v50, v[24:25] offset:2048
	ds_write_b64 v1, v[2:3] offset:18432
	v_lshl_add_u64 v[8:9], v[8:9], 3, s[4:5]
	ds_read_b64 v[2:3], v1 offset:17408
	ds_read_b64 v[4:5], v50 offset:3072
	global_load_dwordx2 v[8:9], v[8:9], off
	s_waitcnt lgkmcnt(0)
	v_pk_add_f32 v[22:23], v[4:5], v[2:3] neg_lo:[0,1] neg_hi:[0,1]
	v_pk_add_f32 v[2:3], v[4:5], v[2:3]
	v_mov_b32_e32 v4, v22
	v_mov_b32_e32 v5, v3
	;; [unrolled: 1-line block ×4, first 2 shown]
	s_waitcnt vmcnt(3)
	v_pk_mul_f32 v[28:29], v[4:5], v[10:11] op_sel:[0,1]
	v_mov_b32_e32 v26, v3
	v_mov_b32_e32 v27, v22
	v_pk_fma_f32 v[4:5], v[4:5], v[10:11], v[24:25] op_sel:[0,1,0]
	v_mov_b32_e32 v3, v29
	v_mov_b32_e32 v29, v23
	v_pk_fma_f32 v[24:25], v[10:11], v[26:27], v[4:5] neg_lo:[1,0,0] neg_hi:[1,0,0]
	v_pk_fma_f32 v[4:5], v[10:11], v[26:27], v[4:5] op_sel_hi:[0,1,1]
	v_pk_add_f32 v[2:3], v[2:3], v[28:29] neg_lo:[0,1] neg_hi:[0,1]
	v_mov_b32_e32 v25, v5
	v_pk_fma_f32 v[2:3], v[10:11], v[26:27], v[2:3] op_sel_hi:[0,1,1]
	v_mov_b32_e32 v10, 0x1c00
	ds_write_b64 v50, v[24:25] offset:3072
	ds_write_b64 v1, v[2:3] offset:17408
	v_lshl_or_b32 v17, v0, 3, v10
	ds_read_b64 v[2:3], v1 offset:16384
	ds_read_b64 v[4:5], v50 offset:4096
	global_load_dwordx2 v[10:11], v17, s[4:5]
	v_add_u32_e32 v17, 0, v17
	s_waitcnt lgkmcnt(0)
	v_pk_add_f32 v[22:23], v[4:5], v[2:3] neg_lo:[0,1] neg_hi:[0,1]
	v_pk_add_f32 v[2:3], v[4:5], v[2:3]
	v_mov_b32_e32 v4, v22
	v_mov_b32_e32 v5, v3
	;; [unrolled: 1-line block ×4, first 2 shown]
	s_waitcnt vmcnt(3)
	v_pk_mul_f32 v[28:29], v[4:5], v[20:21] op_sel:[0,1]
	v_mov_b32_e32 v26, v3
	v_mov_b32_e32 v27, v22
	v_pk_fma_f32 v[4:5], v[4:5], v[20:21], v[24:25] op_sel:[0,1,0]
	v_mov_b32_e32 v3, v29
	v_mov_b32_e32 v29, v23
	v_pk_fma_f32 v[24:25], v[20:21], v[26:27], v[4:5] neg_lo:[1,0,0] neg_hi:[1,0,0]
	v_pk_fma_f32 v[4:5], v[20:21], v[26:27], v[4:5] op_sel_hi:[0,1,1]
	v_pk_add_f32 v[2:3], v[2:3], v[28:29] neg_lo:[0,1] neg_hi:[0,1]
	v_mov_b32_e32 v25, v5
	v_pk_fma_f32 v[2:3], v[20:21], v[26:27], v[2:3] op_sel_hi:[0,1,1]
	v_or_b32_e32 v20, 0x400, v16
	v_mov_b32_e32 v21, v19
	ds_write_b64 v50, v[24:25] offset:4096
	ds_write_b64 v1, v[2:3] offset:16384
	v_lshl_add_u64 v[20:21], v[20:21], 3, s[4:5]
	ds_read_b64 v[2:3], v1 offset:15360
	ds_read_b64 v[4:5], v50 offset:5120
	global_load_dwordx2 v[20:21], v[20:21], off
	s_waitcnt lgkmcnt(0)
	v_pk_add_f32 v[22:23], v[4:5], v[2:3] neg_lo:[0,1] neg_hi:[0,1]
	v_pk_add_f32 v[2:3], v[4:5], v[2:3]
	v_mov_b32_e32 v4, v22
	v_mov_b32_e32 v5, v3
	;; [unrolled: 1-line block ×4, first 2 shown]
	s_waitcnt vmcnt(3)
	v_pk_mul_f32 v[28:29], v[4:5], v[6:7] op_sel:[0,1]
	v_mov_b32_e32 v26, v3
	v_mov_b32_e32 v27, v22
	v_pk_fma_f32 v[4:5], v[4:5], v[6:7], v[24:25] op_sel:[0,1,0]
	v_mov_b32_e32 v3, v29
	v_mov_b32_e32 v29, v23
	v_pk_fma_f32 v[24:25], v[6:7], v[26:27], v[4:5] neg_lo:[1,0,0] neg_hi:[1,0,0]
	v_pk_fma_f32 v[4:5], v[6:7], v[26:27], v[4:5] op_sel_hi:[0,1,1]
	v_pk_add_f32 v[2:3], v[2:3], v[28:29] neg_lo:[0,1] neg_hi:[0,1]
	v_mov_b32_e32 v25, v5
	v_pk_fma_f32 v[2:3], v[6:7], v[26:27], v[2:3] op_sel_hi:[0,1,1]
	v_or_b32_e32 v6, 0x480, v16
	v_mov_b32_e32 v7, v19
	ds_write_b64 v50, v[24:25] offset:5120
	ds_write_b64 v1, v[2:3] offset:15360
	v_lshl_add_u64 v[6:7], v[6:7], 3, s[4:5]
	ds_read_b64 v[2:3], v1 offset:14336
	ds_read_b64 v[4:5], v50 offset:6144
	global_load_dwordx2 v[6:7], v[6:7], off
	s_movk_i32 s4, 0x1f0
	s_waitcnt lgkmcnt(0)
	v_pk_add_f32 v[22:23], v[4:5], v[2:3] neg_lo:[0,1] neg_hi:[0,1]
	v_pk_add_f32 v[2:3], v[4:5], v[2:3]
	v_mov_b32_e32 v4, v22
	v_mov_b32_e32 v5, v3
	;; [unrolled: 1-line block ×4, first 2 shown]
	s_waitcnt vmcnt(3)
	v_pk_mul_f32 v[26:27], v[4:5], v[8:9] op_sel:[0,1]
	v_pk_fma_f32 v[4:5], v[4:5], v[8:9], v[24:25] op_sel:[0,1,0]
	v_mov_b32_e32 v24, v3
	v_mov_b32_e32 v25, v22
	;; [unrolled: 1-line block ×4, first 2 shown]
	v_pk_fma_f32 v[28:29], v[8:9], v[24:25], v[4:5] neg_lo:[1,0,0] neg_hi:[1,0,0]
	v_pk_fma_f32 v[4:5], v[8:9], v[24:25], v[4:5] op_sel_hi:[0,1,1]
	v_pk_add_f32 v[2:3], v[2:3], v[26:27] neg_lo:[0,1] neg_hi:[0,1]
	v_mov_b32_e32 v29, v5
	v_pk_fma_f32 v[2:3], v[8:9], v[24:25], v[2:3] op_sel_hi:[0,1,1]
	ds_write_b64 v50, v[28:29] offset:6144
	ds_write_b64 v1, v[2:3] offset:14336
	ds_read_b64 v[2:3], v1 offset:13312
	ds_read_b64 v[4:5], v17
	s_waitcnt lgkmcnt(0)
	v_pk_add_f32 v[8:9], v[4:5], v[2:3]
	v_pk_add_f32 v[2:3], v[4:5], v[2:3] neg_lo:[0,1] neg_hi:[0,1]
	v_mov_b32_e32 v4, v9
	v_mov_b32_e32 v5, v2
	;; [unrolled: 1-line block ×3, first 2 shown]
	s_waitcnt vmcnt(2)
	v_pk_mul_f32 v[22:23], v[4:5], v[10:11] op_sel:[0,1]
	s_nop 0
	v_pk_add_f32 v[24:25], v[8:9], v[22:23] op_sel:[0,1] op_sel_hi:[1,0]
	v_mov_b32_e32 v9, v22
	v_mov_b32_e32 v2, v23
	v_pk_fma_f32 v[26:27], v[10:11], v[4:5], v[24:25] neg_lo:[1,0,0] neg_hi:[1,0,0]
	v_pk_fma_f32 v[24:25], v[10:11], v[4:5], v[24:25] op_sel_hi:[0,1,1]
	v_pk_add_f32 v[2:3], v[8:9], v[2:3] neg_lo:[0,1] neg_hi:[0,1]
	v_mov_b32_e32 v27, v25
	v_pk_fma_f32 v[2:3], v[10:11], v[4:5], v[2:3] op_sel_hi:[0,1,1]
	ds_write_b64 v17, v[26:27]
	ds_write_b64 v1, v[2:3] offset:13312
	ds_read_b64 v[2:3], v1 offset:12288
	ds_read_b64 v[4:5], v50 offset:8192
	v_or_b32_e32 v17, 0x80, v16
	v_lshlrev_b32_e32 v80, 2, v17
	s_waitcnt lgkmcnt(0)
	v_pk_add_f32 v[8:9], v[4:5], v[2:3] neg_lo:[0,1] neg_hi:[0,1]
	v_pk_add_f32 v[2:3], v[4:5], v[2:3]
	v_mov_b32_e32 v4, v8
	v_mov_b32_e32 v5, v3
	;; [unrolled: 1-line block ×4, first 2 shown]
	s_waitcnt vmcnt(1)
	v_pk_mul_f32 v[22:23], v[4:5], v[20:21] op_sel:[0,1]
	v_pk_fma_f32 v[4:5], v[4:5], v[20:21], v[10:11] op_sel:[0,1,0]
	v_mov_b32_e32 v10, v3
	v_mov_b32_e32 v11, v8
	;; [unrolled: 1-line block ×4, first 2 shown]
	v_pk_fma_f32 v[24:25], v[20:21], v[10:11], v[4:5] neg_lo:[1,0,0] neg_hi:[1,0,0]
	v_pk_fma_f32 v[4:5], v[20:21], v[10:11], v[4:5] op_sel_hi:[0,1,1]
	v_pk_add_f32 v[2:3], v[2:3], v[22:23] neg_lo:[0,1] neg_hi:[0,1]
	v_mov_b32_e32 v25, v5
	v_pk_fma_f32 v[2:3], v[20:21], v[10:11], v[2:3] op_sel_hi:[0,1,1]
	ds_write_b64 v50, v[24:25] offset:8192
	ds_write_b64 v1, v[2:3] offset:12288
	ds_read_b64 v[2:3], v1 offset:11264
	ds_read_b64 v[4:5], v50 offset:9216
	s_waitcnt lgkmcnt(0)
	v_pk_add_f32 v[8:9], v[4:5], v[2:3] neg_lo:[0,1] neg_hi:[0,1]
	v_pk_add_f32 v[2:3], v[4:5], v[2:3]
	v_mov_b32_e32 v4, v8
	v_mov_b32_e32 v5, v3
	;; [unrolled: 1-line block ×4, first 2 shown]
	s_waitcnt vmcnt(0)
	v_pk_mul_f32 v[20:21], v[4:5], v[6:7] op_sel:[0,1]
	v_pk_fma_f32 v[4:5], v[4:5], v[6:7], v[10:11] op_sel:[0,1,0]
	v_mov_b32_e32 v10, v3
	v_mov_b32_e32 v11, v8
	;; [unrolled: 1-line block ×4, first 2 shown]
	v_pk_fma_f32 v[22:23], v[6:7], v[10:11], v[4:5] neg_lo:[1,0,0] neg_hi:[1,0,0]
	v_pk_fma_f32 v[4:5], v[6:7], v[10:11], v[4:5] op_sel_hi:[0,1,1]
	v_pk_add_f32 v[2:3], v[2:3], v[20:21] neg_lo:[0,1] neg_hi:[0,1]
	v_mov_b32_e32 v23, v5
	v_pk_fma_f32 v[2:3], v[6:7], v[10:11], v[2:3] op_sel_hi:[0,1,1]
	ds_write_b64 v50, v[22:23] offset:9216
	ds_write_b64 v1, v[2:3] offset:11264
	s_waitcnt lgkmcnt(0)
	s_barrier
	s_barrier
	ds_read2st64_b64 v[2:5], v50 offset1:2
	ds_read2st64_b64 v[6:9], v50 offset0:20 offset1:22
	ds_read2st64_b64 v[20:23], v50 offset0:8 offset1:10
	;; [unrolled: 1-line block ×3, first 2 shown]
	v_or_b32_e32 v1, 0x180, v16
	s_waitcnt lgkmcnt(2)
	v_pk_add_f32 v[6:7], v[2:3], v[6:7] neg_lo:[0,1] neg_hi:[0,1]
	s_nop 0
	v_pk_fma_f32 v[2:3], v[2:3], 2.0, v[6:7] op_sel_hi:[1,0,1] neg_lo:[0,0,1] neg_hi:[0,0,1]
	s_waitcnt lgkmcnt(0)
	v_pk_add_f32 v[10:11], v[22:23], v[26:27] neg_lo:[0,1] neg_hi:[0,1]
	ds_read2st64_b64 v[26:29], v50 offset0:12 offset1:14
	ds_read2st64_b64 v[30:33], v50 offset0:32 offset1:34
	v_pk_fma_f32 v[22:23], v[22:23], 2.0, v[10:11] op_sel_hi:[1,0,1] neg_lo:[0,0,1] neg_hi:[0,0,1]
	v_pk_add_f32 v[44:45], v[6:7], v[10:11] op_sel:[0,1] op_sel_hi:[1,0]
	v_pk_add_f32 v[10:11], v[6:7], v[10:11] op_sel:[0,1] op_sel_hi:[1,0] neg_lo:[0,1] neg_hi:[0,1]
	v_pk_add_f32 v[22:23], v[2:3], v[22:23] neg_lo:[0,1] neg_hi:[0,1]
	v_mov_b32_e32 v45, v11
	v_pk_add_f32 v[48:49], v[4:5], v[8:9] neg_lo:[0,1] neg_hi:[0,1]
	v_pk_fma_f32 v[42:43], v[2:3], 2.0, v[22:23] op_sel_hi:[1,0,1] neg_lo:[0,0,1] neg_hi:[0,0,1]
	v_pk_fma_f32 v[46:47], v[6:7], 2.0, v[44:45] op_sel_hi:[1,0,1] neg_lo:[0,0,1] neg_hi:[0,0,1]
	;; [unrolled: 1-line block ×3, first 2 shown]
	ds_read2st64_b64 v[2:5], v50 offset0:4 offset1:6
	ds_read2st64_b64 v[6:9], v50 offset0:24 offset1:26
	;; [unrolled: 1-line block ×4, first 2 shown]
	s_waitcnt lgkmcnt(4)
	v_pk_add_f32 v[30:31], v[26:27], v[30:31] neg_lo:[0,1] neg_hi:[0,1]
	v_pk_add_f32 v[32:33], v[28:29], v[32:33] neg_lo:[0,1] neg_hi:[0,1]
	v_pk_fma_f32 v[26:27], v[26:27], 2.0, v[30:31] op_sel_hi:[1,0,1] neg_lo:[0,0,1] neg_hi:[0,0,1]
	s_waitcnt lgkmcnt(2)
	v_pk_add_f32 v[6:7], v[2:3], v[6:7] neg_lo:[0,1] neg_hi:[0,1]
	v_pk_add_f32 v[8:9], v[4:5], v[8:9] neg_lo:[0,1] neg_hi:[0,1]
	s_waitcnt lgkmcnt(0)
	v_pk_add_f32 v[38:39], v[34:35], v[38:39] neg_lo:[0,1] neg_hi:[0,1]
	v_pk_add_f32 v[26:27], v[52:53], v[26:27] neg_lo:[0,1] neg_hi:[0,1]
	v_pk_fma_f32 v[28:29], v[28:29], 2.0, v[32:33] op_sel_hi:[1,0,1] neg_lo:[0,0,1] neg_hi:[0,0,1]
	v_pk_fma_f32 v[2:3], v[2:3], 2.0, v[6:7] op_sel_hi:[1,0,1] neg_lo:[0,0,1] neg_hi:[0,0,1]
	;; [unrolled: 1-line block ×4, first 2 shown]
	s_barrier
	ds_write2_b64 v56, v[42:43], v[46:47] offset1:1
	v_pk_fma_f32 v[42:43], v[52:53], 2.0, v[26:27] op_sel_hi:[1,0,1] neg_lo:[0,0,1] neg_hi:[0,0,1]
	v_pk_add_f32 v[46:47], v[48:49], v[30:31] op_sel:[0,1] op_sel_hi:[1,0]
	v_pk_add_f32 v[30:31], v[48:49], v[30:31] op_sel:[0,1] op_sel_hi:[1,0] neg_lo:[0,1] neg_hi:[0,1]
	v_pk_add_f32 v[28:29], v[2:3], v[28:29] neg_lo:[0,1] neg_hi:[0,1]
	v_pk_add_f32 v[52:53], v[6:7], v[32:33] op_sel:[0,1] op_sel_hi:[1,0]
	v_pk_add_f32 v[32:33], v[6:7], v[32:33] op_sel:[0,1] op_sel_hi:[1,0] neg_lo:[0,1] neg_hi:[0,1]
	v_pk_add_f32 v[34:35], v[4:5], v[34:35] neg_lo:[0,1] neg_hi:[0,1]
	v_pk_add_f32 v[54:55], v[8:9], v[38:39] op_sel:[0,1] op_sel_hi:[1,0]
	v_pk_add_f32 v[38:39], v[8:9], v[38:39] op_sel:[0,1] op_sel_hi:[1,0] neg_lo:[0,1] neg_hi:[0,1]
	v_mov_b32_e32 v47, v31
	v_pk_fma_f32 v[2:3], v[2:3], 2.0, v[28:29] op_sel_hi:[1,0,1] neg_lo:[0,0,1] neg_hi:[0,0,1]
	v_mov_b32_e32 v53, v33
	v_pk_add_f32 v[24:25], v[20:21], v[24:25] neg_lo:[0,1] neg_hi:[0,1]
	v_pk_fma_f32 v[4:5], v[4:5], 2.0, v[34:35] op_sel_hi:[1,0,1] neg_lo:[0,0,1] neg_hi:[0,0,1]
	v_pk_add_f32 v[40:41], v[36:37], v[40:41] neg_lo:[0,1] neg_hi:[0,1]
	v_mov_b32_e32 v55, v39
	v_lshl_add_u32 v10, v17, 5, 0
	v_pk_fma_f32 v[48:49], v[48:49], 2.0, v[46:47] op_sel_hi:[1,0,1] neg_lo:[0,0,1] neg_hi:[0,0,1]
	v_lshl_add_u32 v30, v51, 5, 0
	v_pk_fma_f32 v[6:7], v[6:7], 2.0, v[52:53] op_sel_hi:[1,0,1] neg_lo:[0,0,1] neg_hi:[0,0,1]
	;; [unrolled: 2-line block ×3, first 2 shown]
	v_pk_fma_f32 v[8:9], v[8:9], 2.0, v[54:55] op_sel_hi:[1,0,1] neg_lo:[0,0,1] neg_hi:[0,0,1]
	v_pk_fma_f32 v[36:37], v[36:37], 2.0, v[40:41] op_sel_hi:[1,0,1] neg_lo:[0,0,1] neg_hi:[0,0,1]
	ds_write2_b64 v56, v[22:23], v[44:45] offset0:2 offset1:3
	ds_write2_b64 v10, v[42:43], v[48:49] offset1:1
	ds_write2_b64 v10, v[26:27], v[46:47] offset0:2 offset1:3
	ds_write2_b64 v30, v[2:3], v[6:7] offset1:1
	ds_write2_b64 v30, v[28:29], v[52:53] offset0:2 offset1:3
	ds_write2_b64 v32, v[4:5], v[8:9] offset1:1
	ds_write2_b64 v32, v[34:35], v[54:55] offset0:2 offset1:3
	v_pk_add_f32 v[2:3], v[24:25], v[40:41] op_sel:[0,1] op_sel_hi:[1,0]
	v_pk_add_f32 v[4:5], v[24:25], v[40:41] op_sel:[0,1] op_sel_hi:[1,0] neg_lo:[0,1] neg_hi:[0,1]
	v_pk_add_f32 v[36:37], v[20:21], v[36:37] neg_lo:[0,1] neg_hi:[0,1]
	v_mov_b32_e32 v3, v5
	v_lshl_add_u32 v38, v18, 5, 0
	v_pk_fma_f32 v[20:21], v[20:21], 2.0, v[36:37] op_sel_hi:[1,0,1] neg_lo:[0,0,1] neg_hi:[0,0,1]
	v_pk_fma_f32 v[6:7], v[24:25], 2.0, v[2:3] op_sel_hi:[1,0,1] neg_lo:[0,0,1] neg_hi:[0,0,1]
	ds_write2_b64 v38, v[20:21], v[6:7] offset1:1
	ds_write2_b64 v38, v[36:37], v[2:3] offset0:2 offset1:3
	v_mul_u32_u24_e32 v2, 3, v78
	v_lshlrev_b32_e32 v6, 3, v2
	s_waitcnt lgkmcnt(0)
	s_barrier
	global_load_dwordx4 v[2:5], v6, s[8:9]
	global_load_dwordx2 v[10:11], v6, s[8:9] offset:16
	ds_read2st64_b64 v[6:9], v50 offset0:18 offset1:20
	ds_read2st64_b64 v[20:23], v50 offset0:30 offset1:32
	;; [unrolled: 1-line block ×3, first 2 shown]
	ds_read_b64 v[36:37], v50 offset:19456
	ds_read2st64_b64 v[28:31], v50 offset0:14 offset1:16
	ds_read2st64_b64 v[32:35], v50 offset0:34 offset1:36
	v_lshlrev_b32_e32 v51, 2, v51
	v_lshlrev_b32_e32 v1, 2, v1
	s_waitcnt vmcnt(1) lgkmcnt(5)
	v_pk_mul_f32 v[38:39], v[6:7], v[2:3] op_sel:[0,1]
	s_nop 0
	v_pk_fma_f32 v[40:41], v[6:7], v[2:3], v[38:39] op_sel:[0,0,1] op_sel_hi:[1,1,0]
	v_pk_fma_f32 v[38:39], v[6:7], v[2:3], v[38:39] op_sel:[0,0,1] op_sel_hi:[1,0,0] neg_lo:[0,0,1] neg_hi:[0,0,1]
	s_waitcnt lgkmcnt(1)
	v_pk_mul_f32 v[6:7], v[30:31], v[2:3] op_sel:[0,1]
	v_mov_b32_e32 v41, v39
	v_pk_fma_f32 v[42:43], v[30:31], v[2:3], v[6:7] op_sel:[0,0,1] op_sel_hi:[1,1,0]
	v_pk_fma_f32 v[30:31], v[30:31], v[2:3], v[6:7] op_sel:[0,0,1] op_sel_hi:[1,0,0] neg_lo:[0,0,1] neg_hi:[0,0,1]
	v_pk_mul_f32 v[6:7], v[28:29], v[2:3] op_sel:[0,1]
	v_mov_b32_e32 v43, v31
	v_pk_fma_f32 v[44:45], v[28:29], v[2:3], v[6:7] op_sel:[0,0,1] op_sel_hi:[1,1,0]
	v_pk_fma_f32 v[28:29], v[28:29], v[2:3], v[6:7] op_sel:[0,0,1] op_sel_hi:[1,0,0] neg_lo:[0,0,1] neg_hi:[0,0,1]
	;; [unrolled: 4-line block ×3, first 2 shown]
	s_waitcnt vmcnt(0)
	v_pk_mul_f32 v[6:7], v[10:11], v[20:21] op_sel:[0,1]
	v_mov_b32_e32 v47, v49
	v_pk_fma_f32 v[52:53], v[10:11], v[20:21], v[6:7] op_sel:[0,0,1] op_sel_hi:[1,1,0]
	v_pk_fma_f32 v[20:21], v[10:11], v[20:21], v[6:7] op_sel:[0,0,1] op_sel_hi:[1,0,0] neg_lo:[1,0,0] neg_hi:[1,0,0]
	s_waitcnt lgkmcnt(0)
	v_pk_mul_f32 v[6:7], v[34:35], v[10:11] op_sel:[0,1]
	v_mov_b32_e32 v20, v5
	v_pk_fma_f32 v[54:55], v[34:35], v[10:11], v[6:7] op_sel:[0,0,1] op_sel_hi:[1,1,0]
	v_pk_fma_f32 v[34:35], v[34:35], v[10:11], v[6:7] op_sel:[0,0,1] op_sel_hi:[1,0,0] neg_lo:[0,0,1] neg_hi:[0,0,1]
	v_pk_mul_f32 v[6:7], v[32:33], v[10:11] op_sel:[0,1]
	v_mov_b32_e32 v53, v21
	v_pk_fma_f32 v[56:57], v[32:33], v[10:11], v[6:7] op_sel:[0,0,1] op_sel_hi:[1,1,0]
	v_pk_fma_f32 v[32:33], v[32:33], v[10:11], v[6:7] op_sel:[0,0,1] op_sel_hi:[1,0,0] neg_lo:[0,0,1] neg_hi:[0,0,1]
	;; [unrolled: 4-line block ×4, first 2 shown]
	ds_read2st64_b64 v[6:9], v50 offset0:22 offset1:24
	v_pk_mul_f32 v[36:37], v[26:27], v[20:21] op_sel_hi:[1,0]
	v_mov_b32_e32 v61, v11
	v_pk_fma_f32 v[62:63], v[26:27], v[4:5], v[36:37] op_sel:[0,0,1] op_sel_hi:[1,1,0]
	v_pk_fma_f32 v[26:27], v[26:27], v[4:5], v[36:37] op_sel:[0,0,1] op_sel_hi:[1,0,0] neg_lo:[0,0,1] neg_hi:[0,0,1]
	v_pk_mul_f32 v[36:37], v[24:25], v[20:21] op_sel_hi:[1,0]
	s_waitcnt lgkmcnt(0)
	v_pk_mul_f32 v[68:69], v[6:7], v[20:21] op_sel_hi:[1,0]
	v_pk_fma_f32 v[64:65], v[24:25], v[4:5], v[36:37] op_sel:[0,0,1] op_sel_hi:[1,1,0]
	v_pk_fma_f32 v[24:25], v[24:25], v[4:5], v[36:37] op_sel:[0,0,1] op_sel_hi:[1,0,0] neg_lo:[0,0,1] neg_hi:[0,0,1]
	v_pk_mul_f32 v[36:37], v[8:9], v[20:21] op_sel_hi:[1,0]
	v_pk_fma_f32 v[70:71], v[6:7], v[4:5], v[68:69] op_sel:[0,0,1] op_sel_hi:[1,1,0]
	v_pk_fma_f32 v[66:67], v[8:9], v[4:5], v[36:37] op_sel:[0,0,1] op_sel_hi:[1,1,0]
	v_pk_fma_f32 v[8:9], v[8:9], v[4:5], v[36:37] op_sel:[0,0,1] op_sel_hi:[1,0,0] neg_lo:[0,0,1] neg_hi:[0,0,1]
	v_pk_fma_f32 v[68:69], v[6:7], v[4:5], v[68:69] op_sel:[0,0,1] op_sel_hi:[1,0,0] neg_lo:[0,0,1] neg_hi:[0,0,1]
	v_add_u32_e32 v8, 0x1800, v50
	ds_read2_b32 v[36:37], v8 offset1:1
	ds_read2st64_b64 v[4:7], v50 offset0:8 offset1:10
	v_mov_b32_e32 v63, v27
	v_mov_b32_e32 v65, v25
	;; [unrolled: 1-line block ×3, first 2 shown]
	s_waitcnt lgkmcnt(1)
	v_mov_b32_e32 v8, v37
	v_pk_mul_f32 v[72:73], v[8:9], v[2:3] op_sel_hi:[0,1]
	v_pk_fma_f32 v[74:75], v[2:3], v[36:37], v[72:73] op_sel:[0,0,1] op_sel_hi:[1,1,0]
	v_pk_fma_f32 v[36:37], v[2:3], v[36:37], v[72:73] op_sel:[0,0,1] op_sel_hi:[1,0,0] neg_lo:[1,0,0] neg_hi:[1,0,0]
	s_waitcnt lgkmcnt(0)
	v_pk_mul_f32 v[72:73], v[2:3], v[6:7] op_sel:[0,1]
	v_pk_add_f32 v[10:11], v[4:5], v[62:63] neg_lo:[0,1] neg_hi:[0,1]
	v_pk_fma_f32 v[76:77], v[2:3], v[6:7], v[72:73] op_sel:[0,0,1] op_sel_hi:[1,1,0]
	v_pk_fma_f32 v[6:7], v[2:3], v[6:7], v[72:73] op_sel:[0,0,1] op_sel_hi:[1,0,0] neg_lo:[1,0,0] neg_hi:[1,0,0]
	v_pk_fma_f32 v[20:21], v[4:5], 2.0, v[10:11] op_sel_hi:[1,0,1] neg_lo:[0,0,1] neg_hi:[0,0,1]
	ds_read2st64_b64 v[2:5], v50 offset0:4 offset1:6
	v_and_or_b32 v6, v79, s4, v78
	s_movk_i32 s4, 0x3f0
	v_lshl_add_u32 v18, v6, 3, 0
	v_and_or_b32 v6, v80, s4, v78
	s_waitcnt lgkmcnt(0)
	v_pk_add_f32 v[24:25], v[4:5], v[64:65] neg_lo:[0,1] neg_hi:[0,1]
	v_pk_add_f32 v[26:27], v[2:3], v[66:67] neg_lo:[0,1] neg_hi:[0,1]
	v_pk_fma_f32 v[8:9], v[4:5], 2.0, v[24:25] op_sel_hi:[1,0,1] neg_lo:[0,0,1] neg_hi:[0,0,1]
	v_pk_fma_f32 v[28:29], v[2:3], 2.0, v[26:27] op_sel_hi:[1,0,1] neg_lo:[0,0,1] neg_hi:[0,0,1]
	ds_read2st64_b64 v[2:5], v50 offset1:2
	s_movk_i32 s4, 0x5f0
	v_lshl_add_u32 v62, v6, 3, 0
	v_and_or_b32 v6, v51, s4, v78
	s_movk_i32 s4, 0x7f0
	v_lshl_add_u32 v63, v6, 3, 0
	v_and_or_b32 v6, v1, s4, v78
	s_movk_i32 s4, 0x9f0
	v_mov_b32_e32 v77, v7
	v_lshl_add_u32 v64, v6, 3, 0
	v_and_or_b32 v6, v81, s4, v78
	v_lshl_add_u32 v65, v6, 3, 0
	s_waitcnt lgkmcnt(0)
	v_pk_add_f32 v[6:7], v[2:3], v[46:47] neg_lo:[0,1] neg_hi:[0,1]
	v_pk_add_f32 v[22:23], v[76:77], v[52:53] neg_lo:[0,1] neg_hi:[0,1]
	v_pk_fma_f32 v[2:3], v[2:3], 2.0, v[6:7] op_sel_hi:[1,0,1] neg_lo:[0,0,1] neg_hi:[0,0,1]
	v_pk_fma_f32 v[30:31], v[76:77], 2.0, v[22:23] op_sel_hi:[1,0,1] neg_lo:[0,0,1] neg_hi:[0,0,1]
	v_pk_add_f32 v[52:53], v[6:7], v[22:23] op_sel:[0,1] op_sel_hi:[1,0]
	v_pk_add_f32 v[22:23], v[6:7], v[22:23] op_sel:[0,1] op_sel_hi:[1,0] neg_lo:[0,1] neg_hi:[0,1]
	v_mov_b32_e32 v75, v37
	v_mov_b32_e32 v71, v69
	v_pk_add_f32 v[30:31], v[2:3], v[30:31] neg_lo:[0,1] neg_hi:[0,1]
	v_mov_b32_e32 v53, v23
	v_mov_b32_e32 v57, v33
	v_pk_fma_f32 v[2:3], v[2:3], 2.0, v[30:31] op_sel_hi:[1,0,1] neg_lo:[0,0,1] neg_hi:[0,0,1]
	v_pk_add_f32 v[32:33], v[4:5], v[70:71] neg_lo:[0,1] neg_hi:[0,1]
	v_pk_add_f32 v[34:35], v[74:75], v[58:59] neg_lo:[0,1] neg_hi:[0,1]
	v_pk_fma_f32 v[6:7], v[6:7], 2.0, v[52:53] op_sel_hi:[1,0,1] neg_lo:[0,0,1] neg_hi:[0,0,1]
	v_pk_fma_f32 v[4:5], v[4:5], 2.0, v[32:33] op_sel_hi:[1,0,1] neg_lo:[0,0,1] neg_hi:[0,0,1]
	;; [unrolled: 1-line block ×3, first 2 shown]
	s_barrier
	ds_write2_b64 v18, v[2:3], v[6:7] offset1:4
	ds_write2_b64 v18, v[30:31], v[52:53] offset0:8 offset1:12
	v_pk_add_f32 v[2:3], v[32:33], v[34:35] op_sel:[0,1] op_sel_hi:[1,0]
	v_pk_add_f32 v[6:7], v[32:33], v[34:35] op_sel:[0,1] op_sel_hi:[1,0] neg_lo:[0,1] neg_hi:[0,1]
	v_pk_add_f32 v[36:37], v[4:5], v[36:37] neg_lo:[0,1] neg_hi:[0,1]
	v_mov_b32_e32 v3, v7
	v_pk_fma_f32 v[4:5], v[4:5], 2.0, v[36:37] op_sel_hi:[1,0,1] neg_lo:[0,0,1] neg_hi:[0,0,1]
	v_pk_add_f32 v[48:49], v[44:45], v[56:57] neg_lo:[0,1] neg_hi:[0,1]
	v_pk_fma_f32 v[6:7], v[32:33], 2.0, v[2:3] op_sel_hi:[1,0,1] neg_lo:[0,0,1] neg_hi:[0,0,1]
	v_pk_fma_f32 v[44:45], v[44:45], 2.0, v[48:49] op_sel_hi:[1,0,1] neg_lo:[0,0,1] neg_hi:[0,0,1]
	ds_write2_b64 v62, v[4:5], v[6:7] offset1:4
	ds_write2_b64 v62, v[36:37], v[2:3] offset0:8 offset1:12
	v_pk_add_f32 v[2:3], v[26:27], v[48:49] op_sel:[0,1] op_sel_hi:[1,0]
	v_pk_add_f32 v[4:5], v[26:27], v[48:49] op_sel:[0,1] op_sel_hi:[1,0] neg_lo:[0,1] neg_hi:[0,1]
	v_pk_add_f32 v[44:45], v[28:29], v[44:45] neg_lo:[0,1] neg_hi:[0,1]
	v_mov_b32_e32 v3, v5
	v_pk_add_f32 v[46:47], v[42:43], v[54:55] neg_lo:[0,1] neg_hi:[0,1]
	v_pk_fma_f32 v[28:29], v[28:29], 2.0, v[44:45] op_sel_hi:[1,0,1] neg_lo:[0,0,1] neg_hi:[0,0,1]
	v_pk_fma_f32 v[4:5], v[26:27], 2.0, v[2:3] op_sel_hi:[1,0,1] neg_lo:[0,0,1] neg_hi:[0,0,1]
	;; [unrolled: 1-line block ×3, first 2 shown]
	ds_write2_b64 v63, v[28:29], v[4:5] offset1:4
	ds_write2_b64 v63, v[44:45], v[2:3] offset0:8 offset1:12
	v_pk_add_f32 v[2:3], v[24:25], v[46:47] op_sel:[0,1] op_sel_hi:[1,0]
	v_pk_add_f32 v[4:5], v[24:25], v[46:47] op_sel:[0,1] op_sel_hi:[1,0] neg_lo:[0,1] neg_hi:[0,1]
	v_pk_add_f32 v[42:43], v[8:9], v[42:43] neg_lo:[0,1] neg_hi:[0,1]
	v_mov_b32_e32 v3, v5
	v_pk_add_f32 v[38:39], v[40:41], v[60:61] neg_lo:[0,1] neg_hi:[0,1]
	v_pk_fma_f32 v[8:9], v[8:9], 2.0, v[42:43] op_sel_hi:[1,0,1] neg_lo:[0,0,1] neg_hi:[0,0,1]
	v_pk_fma_f32 v[4:5], v[24:25], 2.0, v[2:3] op_sel_hi:[1,0,1] neg_lo:[0,0,1] neg_hi:[0,0,1]
	;; [unrolled: 1-line block ×3, first 2 shown]
	ds_write2_b64 v64, v[8:9], v[4:5] offset1:4
	ds_write2_b64 v64, v[42:43], v[2:3] offset0:8 offset1:12
	v_pk_add_f32 v[2:3], v[10:11], v[38:39] op_sel:[0,1] op_sel_hi:[1,0]
	v_pk_add_f32 v[4:5], v[10:11], v[38:39] op_sel:[0,1] op_sel_hi:[1,0] neg_lo:[0,1] neg_hi:[0,1]
	v_pk_add_f32 v[40:41], v[20:21], v[40:41] neg_lo:[0,1] neg_hi:[0,1]
	v_mov_b32_e32 v3, v5
	v_pk_fma_f32 v[20:21], v[20:21], 2.0, v[40:41] op_sel_hi:[1,0,1] neg_lo:[0,0,1] neg_hi:[0,0,1]
	v_pk_fma_f32 v[4:5], v[10:11], 2.0, v[2:3] op_sel_hi:[1,0,1] neg_lo:[0,0,1] neg_hi:[0,0,1]
	v_and_b32_e32 v78, 15, v0
	ds_write2_b64 v65, v[20:21], v[4:5] offset1:4
	ds_write2_b64 v65, v[40:41], v[2:3] offset0:8 offset1:12
	v_mul_u32_u24_e32 v2, 3, v78
	v_lshlrev_b32_e32 v6, 3, v2
	s_waitcnt lgkmcnt(0)
	s_barrier
	global_load_dwordx4 v[2:5], v6, s[8:9] offset:96
	global_load_dwordx2 v[10:11], v6, s[8:9] offset:112
	ds_read2st64_b64 v[6:9], v50 offset0:16 offset1:18
	ds_read2st64_b64 v[20:23], v50 offset0:28 offset1:30
	;; [unrolled: 1-line block ×5, first 2 shown]
	s_movk_i32 s4, 0x1c0
	s_waitcnt vmcnt(1) lgkmcnt(4)
	v_pk_mul_f32 v[36:37], v[8:9], v[2:3] op_sel:[0,1]
	s_waitcnt vmcnt(0) lgkmcnt(1)
	v_pk_mul_f32 v[40:41], v[30:31], v[10:11] op_sel:[0,1]
	v_mov_b32_e32 v18, v5
	v_pk_fma_f32 v[42:43], v[30:31], v[10:11], v[40:41] op_sel:[0,0,1] op_sel_hi:[1,1,0]
	v_pk_fma_f32 v[30:31], v[30:31], v[10:11], v[40:41] op_sel:[0,0,1] op_sel_hi:[1,0,0] neg_lo:[0,0,1] neg_hi:[0,0,1]
	v_pk_mul_f32 v[40:41], v[28:29], v[10:11] op_sel:[0,1]
	v_pk_fma_f32 v[38:39], v[8:9], v[2:3], v[36:37] op_sel:[0,0,1] op_sel_hi:[1,1,0]
	v_pk_fma_f32 v[44:45], v[28:29], v[10:11], v[40:41] op_sel:[0,0,1] op_sel_hi:[1,1,0]
	v_pk_fma_f32 v[28:29], v[28:29], v[10:11], v[40:41] op_sel:[0,0,1] op_sel_hi:[1,0,0] neg_lo:[0,0,1] neg_hi:[0,0,1]
	s_waitcnt lgkmcnt(0)
	v_pk_mul_f32 v[40:41], v[34:35], v[10:11] op_sel:[0,1]
	v_pk_fma_f32 v[36:37], v[8:9], v[2:3], v[36:37] op_sel:[0,0,1] op_sel_hi:[1,0,0] neg_lo:[0,0,1] neg_hi:[0,0,1]
	v_pk_fma_f32 v[46:47], v[34:35], v[10:11], v[40:41] op_sel:[0,0,1] op_sel_hi:[1,1,0]
	v_pk_fma_f32 v[34:35], v[34:35], v[10:11], v[40:41] op_sel:[0,0,1] op_sel_hi:[1,0,0] neg_lo:[0,0,1] neg_hi:[0,0,1]
	v_pk_mul_f32 v[40:41], v[32:33], v[10:11] op_sel:[0,1]
	v_pk_mul_f32 v[8:9], v[20:21], v[18:19] op_sel_hi:[1,0]
	v_pk_fma_f32 v[48:49], v[32:33], v[10:11], v[40:41] op_sel:[0,0,1] op_sel_hi:[1,1,0]
	v_pk_fma_f32 v[32:33], v[32:33], v[10:11], v[40:41] op_sel:[0,0,1] op_sel_hi:[1,0,0] neg_lo:[0,0,1] neg_hi:[0,0,1]
	v_pk_mul_f32 v[40:41], v[10:11], v[22:23] op_sel:[0,1]
	v_pk_fma_f32 v[54:55], v[20:21], v[4:5], v[8:9] op_sel:[0,0,1] op_sel_hi:[1,0,0] neg_lo:[0,0,1] neg_hi:[0,0,1]
	v_pk_fma_f32 v[52:53], v[10:11], v[22:23], v[40:41] op_sel:[0,0,1] op_sel_hi:[1,1,0]
	v_pk_fma_f32 v[10:11], v[10:11], v[22:23], v[40:41] op_sel:[0,0,1] op_sel_hi:[1,0,0] neg_lo:[1,0,0] neg_hi:[1,0,0]
	v_pk_fma_f32 v[40:41], v[20:21], v[4:5], v[8:9] op_sel:[0,0,1] op_sel_hi:[1,1,0]
	v_pk_mul_f32 v[8:9], v[6:7], v[2:3] op_sel:[0,1]
	v_pk_mul_f32 v[20:21], v[2:3], v[24:25] op_sel:[0,1]
	v_pk_fma_f32 v[56:57], v[6:7], v[2:3], v[8:9] op_sel:[0,0,1] op_sel_hi:[1,1,0]
	v_pk_fma_f32 v[58:59], v[6:7], v[2:3], v[8:9] op_sel:[0,0,1] op_sel_hi:[1,0,0] neg_lo:[0,0,1] neg_hi:[0,0,1]
	ds_read2st64_b64 v[6:9], v50 offset0:24 offset1:26
	v_pk_fma_f32 v[60:61], v[2:3], v[24:25], v[20:21] op_sel:[0,0,1] op_sel_hi:[1,1,0]
	v_pk_fma_f32 v[24:25], v[2:3], v[24:25], v[20:21] op_sel:[0,0,1] op_sel_hi:[1,0,0] neg_lo:[1,0,0] neg_hi:[1,0,0]
	v_pk_mul_f32 v[20:21], v[26:27], v[2:3] op_sel:[0,1]
	v_mov_b32_e32 v61, v25
	v_pk_fma_f32 v[62:63], v[26:27], v[2:3], v[20:21] op_sel:[0,0,1] op_sel_hi:[1,1,0]
	v_pk_fma_f32 v[26:27], v[26:27], v[2:3], v[20:21] op_sel:[0,0,1] op_sel_hi:[1,0,0] neg_lo:[0,0,1] neg_hi:[0,0,1]
	s_waitcnt lgkmcnt(0)
	v_pk_mul_f32 v[64:65], v[8:9], v[18:19] op_sel_hi:[1,0]
	ds_read2st64_b64 v[20:23], v50 offset0:20 offset1:22
	v_pk_fma_f32 v[66:67], v[8:9], v[4:5], v[64:65] op_sel:[0,0,1] op_sel_hi:[1,1,0]
	v_pk_fma_f32 v[64:65], v[8:9], v[4:5], v[64:65] op_sel:[0,0,1] op_sel_hi:[1,0,0] neg_lo:[0,0,1] neg_hi:[0,0,1]
	v_pk_mul_f32 v[8:9], v[6:7], v[18:19] op_sel_hi:[1,0]
	v_mov_b32_e32 v67, v65
	v_pk_fma_f32 v[68:69], v[6:7], v[4:5], v[8:9] op_sel:[0,0,1] op_sel_hi:[1,1,0]
	v_pk_fma_f32 v[70:71], v[6:7], v[4:5], v[8:9] op_sel:[0,0,1] op_sel_hi:[1,0,0] neg_lo:[0,0,1] neg_hi:[0,0,1]
	ds_read2st64_b64 v[6:9], v50 offset0:8 offset1:10
	s_waitcnt lgkmcnt(1)
	v_pk_mul_f32 v[72:73], v[4:5], v[22:23] op_sel:[0,1]
	v_mov_b32_e32 v69, v71
	v_pk_fma_f32 v[74:75], v[4:5], v[22:23], v[72:73] op_sel:[0,0,1] op_sel_hi:[1,1,0]
	v_pk_fma_f32 v[22:23], v[4:5], v[22:23], v[72:73] op_sel:[0,0,1] op_sel_hi:[1,0,0] neg_lo:[1,0,0] neg_hi:[1,0,0]
	v_pk_mul_f32 v[72:73], v[4:5], v[20:21] op_sel:[0,1]
	v_mov_b32_e32 v41, v55
	v_pk_fma_f32 v[76:77], v[4:5], v[20:21], v[72:73] op_sel:[0,0,1] op_sel_hi:[1,1,0]
	v_pk_fma_f32 v[20:21], v[4:5], v[20:21], v[72:73] op_sel:[0,0,1] op_sel_hi:[1,0,0] neg_lo:[1,0,0] neg_hi:[1,0,0]
	s_waitcnt lgkmcnt(0)
	v_pk_mul_f32 v[4:5], v[2:3], v[8:9] op_sel:[0,1]
	v_mov_b32_e32 v63, v27
	v_pk_fma_f32 v[72:73], v[2:3], v[8:9], v[4:5] op_sel:[0,0,1] op_sel_hi:[1,1,0]
	v_pk_fma_f32 v[8:9], v[2:3], v[8:9], v[4:5] op_sel:[0,0,1] op_sel_hi:[1,0,0] neg_lo:[1,0,0] neg_hi:[1,0,0]
	ds_read2st64_b64 v[2:5], v50 offset0:4 offset1:6
	v_mov_b32_e32 v75, v23
	v_mov_b32_e32 v39, v37
	v_pk_add_f32 v[22:23], v[6:7], v[40:41] neg_lo:[0,1] neg_hi:[0,1]
	v_and_or_b32 v8, v79, s4, v78
	s_waitcnt lgkmcnt(0)
	v_pk_add_f32 v[24:25], v[4:5], v[66:67] neg_lo:[0,1] neg_hi:[0,1]
	v_pk_add_f32 v[26:27], v[2:3], v[68:69] neg_lo:[0,1] neg_hi:[0,1]
	v_pk_fma_f32 v[36:37], v[4:5], 2.0, v[24:25] op_sel_hi:[1,0,1] neg_lo:[0,0,1] neg_hi:[0,0,1]
	v_pk_fma_f32 v[40:41], v[2:3], 2.0, v[26:27] op_sel_hi:[1,0,1] neg_lo:[0,0,1] neg_hi:[0,0,1]
	ds_read2st64_b64 v[2:5], v50 offset1:2
	s_movk_i32 s4, 0x3c0
	v_mov_b32_e32 v53, v11
	v_and_or_b32 v10, v80, s4, v78
	s_movk_i32 s4, 0x5c0
	v_mov_b32_e32 v73, v9
	v_mov_b32_e32 v77, v21
	v_and_or_b32 v11, v51, s4, v78
	v_lshl_add_u32 v51, v8, 3, 0
	s_waitcnt lgkmcnt(0)
	v_pk_add_f32 v[8:9], v[2:3], v[76:77] neg_lo:[0,1] neg_hi:[0,1]
	v_pk_add_f32 v[20:21], v[72:73], v[52:53] neg_lo:[0,1] neg_hi:[0,1]
	v_mov_b32_e32 v45, v29
	v_pk_fma_f32 v[2:3], v[2:3], 2.0, v[8:9] op_sel_hi:[1,0,1] neg_lo:[0,0,1] neg_hi:[0,0,1]
	v_pk_fma_f32 v[28:29], v[72:73], 2.0, v[20:21] op_sel_hi:[1,0,1] neg_lo:[0,0,1] neg_hi:[0,0,1]
	v_pk_add_f32 v[52:53], v[8:9], v[20:21] op_sel:[0,1] op_sel_hi:[1,0]
	v_pk_add_f32 v[20:21], v[8:9], v[20:21] op_sel:[0,1] op_sel_hi:[1,0] neg_lo:[0,1] neg_hi:[0,1]
	v_mov_b32_e32 v49, v33
	v_pk_add_f32 v[28:29], v[2:3], v[28:29] neg_lo:[0,1] neg_hi:[0,1]
	v_mov_b32_e32 v53, v21
	v_mov_b32_e32 v43, v31
	v_lshl_add_u32 v54, v10, 3, 0
	v_lshl_add_u32 v55, v11, 3, 0
	v_pk_add_f32 v[10:11], v[4:5], v[74:75] neg_lo:[0,1] neg_hi:[0,1]
	v_pk_fma_f32 v[2:3], v[2:3], 2.0, v[28:29] op_sel_hi:[1,0,1] neg_lo:[0,0,1] neg_hi:[0,0,1]
	v_pk_add_f32 v[30:31], v[60:61], v[48:49] neg_lo:[0,1] neg_hi:[0,1]
	v_pk_fma_f32 v[8:9], v[8:9], 2.0, v[52:53] op_sel_hi:[1,0,1] neg_lo:[0,0,1] neg_hi:[0,0,1]
	v_pk_fma_f32 v[4:5], v[4:5], 2.0, v[10:11] op_sel_hi:[1,0,1] neg_lo:[0,0,1] neg_hi:[0,0,1]
	;; [unrolled: 1-line block ×3, first 2 shown]
	s_barrier
	ds_write2_b64 v51, v[2:3], v[8:9] offset1:16
	ds_write2_b64 v51, v[28:29], v[52:53] offset0:32 offset1:48
	v_pk_add_f32 v[2:3], v[10:11], v[30:31] op_sel:[0,1] op_sel_hi:[1,0]
	v_pk_add_f32 v[8:9], v[10:11], v[30:31] op_sel:[0,1] op_sel_hi:[1,0] neg_lo:[0,1] neg_hi:[0,1]
	v_mov_b32_e32 v47, v35
	v_pk_add_f32 v[32:33], v[4:5], v[32:33] neg_lo:[0,1] neg_hi:[0,1]
	v_mov_b32_e32 v3, v9
	v_pk_fma_f32 v[4:5], v[4:5], 2.0, v[32:33] op_sel_hi:[1,0,1] neg_lo:[0,0,1] neg_hi:[0,0,1]
	v_pk_add_f32 v[46:47], v[62:63], v[46:47] neg_lo:[0,1] neg_hi:[0,1]
	v_pk_fma_f32 v[8:9], v[10:11], 2.0, v[2:3] op_sel_hi:[1,0,1] neg_lo:[0,0,1] neg_hi:[0,0,1]
	v_pk_fma_f32 v[48:49], v[62:63], 2.0, v[46:47] op_sel_hi:[1,0,1] neg_lo:[0,0,1] neg_hi:[0,0,1]
	ds_write2_b64 v54, v[4:5], v[8:9] offset1:16
	ds_write2_b64 v54, v[32:33], v[2:3] offset0:32 offset1:48
	v_pk_add_f32 v[2:3], v[26:27], v[46:47] op_sel:[0,1] op_sel_hi:[1,0]
	v_pk_add_f32 v[4:5], v[26:27], v[46:47] op_sel:[0,1] op_sel_hi:[1,0] neg_lo:[0,1] neg_hi:[0,1]
	v_mov_b32_e32 v57, v59
	v_pk_add_f32 v[48:49], v[40:41], v[48:49] neg_lo:[0,1] neg_hi:[0,1]
	v_mov_b32_e32 v3, v5
	v_pk_add_f32 v[34:35], v[38:39], v[42:43] neg_lo:[0,1] neg_hi:[0,1]
	v_pk_add_f32 v[42:43], v[56:57], v[44:45] neg_lo:[0,1] neg_hi:[0,1]
	v_pk_fma_f32 v[40:41], v[40:41], 2.0, v[48:49] op_sel_hi:[1,0,1] neg_lo:[0,0,1] neg_hi:[0,0,1]
	v_pk_fma_f32 v[4:5], v[26:27], 2.0, v[2:3] op_sel_hi:[1,0,1] neg_lo:[0,0,1] neg_hi:[0,0,1]
	s_movk_i32 s4, 0x7c0
	v_pk_fma_f32 v[44:45], v[56:57], 2.0, v[42:43] op_sel_hi:[1,0,1] neg_lo:[0,0,1] neg_hi:[0,0,1]
	ds_write2_b64 v55, v[40:41], v[4:5] offset1:16
	ds_write2_b64 v55, v[48:49], v[2:3] offset0:32 offset1:48
	v_pk_add_f32 v[2:3], v[24:25], v[42:43] op_sel:[0,1] op_sel_hi:[1,0]
	v_pk_add_f32 v[4:5], v[24:25], v[42:43] op_sel:[0,1] op_sel_hi:[1,0] neg_lo:[0,1] neg_hi:[0,1]
	v_and_or_b32 v1, v1, s4, v78
	v_pk_add_f32 v[44:45], v[36:37], v[44:45] neg_lo:[0,1] neg_hi:[0,1]
	v_mov_b32_e32 v3, v5
	v_lshl_add_u32 v1, v1, 3, 0
	v_pk_fma_f32 v[36:37], v[36:37], 2.0, v[44:45] op_sel_hi:[1,0,1] neg_lo:[0,0,1] neg_hi:[0,0,1]
	v_pk_fma_f32 v[4:5], v[24:25], 2.0, v[2:3] op_sel_hi:[1,0,1] neg_lo:[0,0,1] neg_hi:[0,0,1]
	v_pk_fma_f32 v[6:7], v[6:7], 2.0, v[22:23] op_sel_hi:[1,0,1] neg_lo:[0,0,1] neg_hi:[0,0,1]
	s_movk_i32 s4, 0x9c0
	v_pk_fma_f32 v[38:39], v[38:39], 2.0, v[34:35] op_sel_hi:[1,0,1] neg_lo:[0,0,1] neg_hi:[0,0,1]
	ds_write2_b64 v1, v[36:37], v[4:5] offset1:16
	ds_write2_b64 v1, v[44:45], v[2:3] offset0:32 offset1:48
	v_pk_add_f32 v[2:3], v[22:23], v[34:35] op_sel:[0,1] op_sel_hi:[1,0]
	v_pk_add_f32 v[4:5], v[22:23], v[34:35] op_sel:[0,1] op_sel_hi:[1,0] neg_lo:[0,1] neg_hi:[0,1]
	v_and_or_b32 v18, v81, s4, v78
	v_pk_add_f32 v[38:39], v[6:7], v[38:39] neg_lo:[0,1] neg_hi:[0,1]
	v_mov_b32_e32 v3, v5
	v_lshl_add_u32 v18, v18, 3, 0
	v_pk_fma_f32 v[6:7], v[6:7], 2.0, v[38:39] op_sel_hi:[1,0,1] neg_lo:[0,0,1] neg_hi:[0,0,1]
	v_pk_fma_f32 v[4:5], v[22:23], 2.0, v[2:3] op_sel_hi:[1,0,1] neg_lo:[0,0,1] neg_hi:[0,0,1]
	ds_write2_b64 v18, v[6:7], v[4:5] offset1:16
	ds_write2_b64 v18, v[38:39], v[2:3] offset0:32 offset1:48
	v_and_b32_e32 v18, 63, v0
	v_mul_u32_u24_e32 v0, 9, v18
	v_lshlrev_b32_e32 v20, 3, v0
	s_waitcnt lgkmcnt(0)
	s_barrier
	global_load_dwordx4 v[8:11], v20, s[8:9] offset:512
	global_load_dwordx4 v[4:7], v20, s[8:9] offset:528
	;; [unrolled: 1-line block ×4, first 2 shown]
	global_load_dwordx2 v[60:61], v20, s[8:9] offset:544
	ds_read2st64_b64 v[42:45], v50 offset0:4 offset1:6
	ds_read2st64_b64 v[28:31], v50 offset0:20 offset1:22
	;; [unrolled: 1-line block ×6, first 2 shown]
	s_mov_b32 s4, 0x3e9e377a
	s_mov_b32 s5, 0x3f167918
	;; [unrolled: 1-line block ×7, first 2 shown]
	s_waitcnt vmcnt(4) lgkmcnt(4)
	v_pk_mul_f32 v[20:21], v[30:31], v[8:9] op_sel:[0,1]
	s_nop 0
	v_pk_fma_f32 v[22:23], v[30:31], v[8:9], v[20:21] op_sel:[0,0,1] op_sel_hi:[1,0,0] neg_lo:[0,0,1] neg_hi:[0,0,1]
	v_pk_fma_f32 v[26:27], v[30:31], v[8:9], v[20:21] op_sel:[0,0,1] op_sel_hi:[1,1,0]
	v_mov_b32_e32 v22, v11
	v_pk_mul_f32 v[30:31], v[28:29], v[8:9] op_sel:[0,1]
	s_waitcnt lgkmcnt(2)
	v_pk_mul_f32 v[24:25], v[40:41], v[22:23] op_sel_hi:[1,0]
	v_pk_fma_f32 v[62:63], v[28:29], v[8:9], v[30:31] op_sel:[0,0,1] op_sel_hi:[1,1,0]
	v_pk_fma_f32 v[64:65], v[28:29], v[8:9], v[30:31] op_sel:[0,0,1] op_sel_hi:[1,0,0] neg_lo:[0,0,1] neg_hi:[0,0,1]
	v_pk_mul_f32 v[8:9], v[38:39], v[22:23] op_sel_hi:[1,0]
	v_pk_fma_f32 v[20:21], v[40:41], v[10:11], v[24:25] op_sel:[0,0,1] op_sel_hi:[1,1,0]
	v_pk_fma_f32 v[66:67], v[38:39], v[10:11], v[8:9] op_sel:[0,0,1] op_sel_hi:[1,1,0]
	v_pk_fma_f32 v[68:69], v[38:39], v[10:11], v[8:9] op_sel:[0,0,1] op_sel_hi:[1,0,0] neg_lo:[0,0,1] neg_hi:[0,0,1]
	s_waitcnt vmcnt(3)
	v_mov_b32_e32 v8, v7
	v_pk_fma_f32 v[32:33], v[40:41], v[10:11], v[24:25] op_sel:[0,0,1] op_sel_hi:[1,0,0] neg_lo:[0,0,1] neg_hi:[0,0,1]
	s_waitcnt lgkmcnt(1)
	v_pk_mul_f32 v[24:25], v[48:49], v[4:5] op_sel:[0,1]
	s_waitcnt lgkmcnt(0)
	v_pk_mul_f32 v[10:11], v[58:59], v[8:9] op_sel_hi:[1,0]
	v_pk_mul_f32 v[30:31], v[46:47], v[4:5] op_sel:[0,1]
	v_pk_mul_f32 v[8:9], v[56:57], v[8:9] op_sel_hi:[1,0]
	v_pk_fma_f32 v[28:29], v[48:49], v[4:5], v[24:25] op_sel:[0,0,1] op_sel_hi:[1,1,0]
	v_pk_fma_f32 v[24:25], v[48:49], v[4:5], v[24:25] op_sel:[0,0,1] op_sel_hi:[1,0,0] neg_lo:[0,0,1] neg_hi:[0,0,1]
	v_pk_fma_f32 v[70:71], v[46:47], v[4:5], v[30:31] op_sel:[0,0,1] op_sel_hi:[1,1,0]
	v_pk_fma_f32 v[72:73], v[46:47], v[4:5], v[30:31] op_sel:[0,0,1] op_sel_hi:[1,0,0] neg_lo:[0,0,1] neg_hi:[0,0,1]
	;; [unrolled: 2-line block ×4, first 2 shown]
	s_waitcnt vmcnt(2)
	v_pk_mul_f32 v[6:7], v[0:1], v[42:43] op_sel:[0,1]
	ds_read2st64_b64 v[56:59], v50 offset0:12 offset1:14
	v_pk_fma_f32 v[78:79], v[0:1], v[42:43], v[6:7] op_sel:[0,0,1] op_sel_hi:[1,0,0]
	v_pk_fma_f32 v[48:49], v[0:1], v[42:43], v[6:7] op_sel:[0,0,1] op_sel_hi:[1,0,0] neg_lo:[1,0,0] neg_hi:[1,0,0]
	v_pk_mul_f32 v[6:7], v[44:45], v[0:1] op_sel:[0,1]
	v_mov_b32_e32 v67, v69
	v_pk_fma_f32 v[30:31], v[44:45], v[0:1], v[6:7] op_sel:[0,0,1] op_sel_hi:[1,0,0]
	v_pk_fma_f32 v[10:11], v[44:45], v[0:1], v[6:7] op_sel:[0,0,1] op_sel_hi:[1,0,0] neg_lo:[0,0,1] neg_hi:[0,0,1]
	v_pk_mul_f32 v[0:1], v[2:3], v[52:53] op_sel:[0,1]
	s_waitcnt vmcnt(1) lgkmcnt(0)
	v_pk_mul_f32 v[8:9], v[34:35], v[56:57] op_sel:[0,1]
	v_pk_fma_f32 v[80:81], v[2:3], v[52:53], v[0:1] op_sel:[0,0,1] op_sel_hi:[1,1,0]
	v_pk_fma_f32 v[82:83], v[2:3], v[52:53], v[0:1] op_sel:[0,0,1] op_sel_hi:[1,0,0] neg_lo:[1,0,0] neg_hi:[1,0,0]
	v_mov_b32_e32 v0, v3
	v_pk_mul_f32 v[0:1], v[54:55], v[0:1] op_sel_hi:[1,0]
	v_pk_fma_f32 v[84:85], v[34:35], v[56:57], v[8:9] op_sel:[0,0,1] op_sel_hi:[1,1,0]
	v_pk_fma_f32 v[6:7], v[54:55], v[2:3], v[0:1] op_sel:[0,0,1] op_sel_hi:[1,1,0]
	v_pk_fma_f32 v[44:45], v[54:55], v[2:3], v[0:1] op_sel:[0,0,1] op_sel_hi:[1,0,0] neg_lo:[0,0,1] neg_hi:[0,0,1]
	ds_read2st64_b64 v[0:3], v50 offset0:16 offset1:18
	v_pk_fma_f32 v[56:57], v[34:35], v[56:57], v[8:9] op_sel:[0,0,1] op_sel_hi:[1,0,0] neg_lo:[1,0,0] neg_hi:[1,0,0]
	v_pk_mul_f32 v[8:9], v[58:59], v[34:35] op_sel:[0,1]
	ds_read2st64_b64 v[52:55], v50 offset0:36 offset1:38
	v_pk_fma_f32 v[38:39], v[58:59], v[34:35], v[8:9] op_sel:[0,0,1] op_sel_hi:[1,1,0]
	v_pk_fma_f32 v[34:35], v[58:59], v[34:35], v[8:9] op_sel:[0,0,1] op_sel_hi:[1,0,0] neg_lo:[0,0,1] neg_hi:[0,0,1]
	s_waitcnt lgkmcnt(1)
	v_pk_mul_f32 v[8:9], v[36:37], v[0:1] op_sel:[0,1]
	v_mov_b32_e32 v68, v62
	v_pk_fma_f32 v[58:59], v[36:37], v[0:1], v[8:9] op_sel:[0,0,1] op_sel_hi:[1,1,0]
	v_pk_fma_f32 v[0:1], v[36:37], v[0:1], v[8:9] op_sel:[0,0,1] op_sel_hi:[1,0,0] neg_lo:[1,0,0] neg_hi:[1,0,0]
	v_mov_b32_e32 v69, v70
	v_mov_b32_e32 v0, v37
	v_pk_mul_f32 v[42:43], v[2:3], v[0:1] op_sel_hi:[1,0]
	v_mov_b32_e32 v59, v1
	v_pk_fma_f32 v[8:9], v[2:3], v[36:37], v[42:43] op_sel:[0,0,1] op_sel_hi:[1,1,0]
	v_pk_fma_f32 v[46:47], v[2:3], v[36:37], v[42:43] op_sel:[0,0,1] op_sel_hi:[1,0,0] neg_lo:[0,0,1] neg_hi:[0,0,1]
	s_waitcnt vmcnt(0) lgkmcnt(0)
	v_pk_mul_f32 v[2:3], v[54:55], v[60:61] op_sel:[0,1]
	v_mov_b32_e32 v79, v49
	v_pk_fma_f32 v[42:43], v[54:55], v[60:61], v[2:3] op_sel:[0,0,1] op_sel_hi:[1,1,0]
	v_pk_fma_f32 v[36:37], v[54:55], v[60:61], v[2:3] op_sel:[0,0,1] op_sel_hi:[1,0,0] neg_lo:[0,0,1] neg_hi:[0,0,1]
	v_pk_mul_f32 v[2:3], v[52:53], v[60:61] op_sel:[0,1]
	v_mov_b32_e32 v85, v57
	v_pk_fma_f32 v[54:55], v[52:53], v[60:61], v[2:3] op_sel:[0,0,1] op_sel_hi:[1,1,0]
	v_pk_fma_f32 v[52:53], v[52:53], v[60:61], v[2:3] op_sel:[0,0,1] op_sel_hi:[1,0,0] neg_lo:[0,0,1] neg_hi:[0,0,1]
	v_mov_b32_e32 v60, v84
	v_mov_b32_e32 v61, v54
	v_pk_add_f32 v[0:1], v[60:61], v[68:69] neg_lo:[0,1] neg_hi:[0,1]
	v_mov_b32_e32 v75, v77
	v_mov_b32_e32 v2, v1
	v_pk_add_f32 v[76:77], v[0:1], v[2:3]
	v_mov_b32_e32 v63, v65
	v_pk_add_f32 v[0:1], v[78:79], v[84:85]
	;; [unrolled: 2-line block ×3, first 2 shown]
	v_mov_b32_e32 v52, v57
	v_mov_b32_e32 v72, v65
	v_mov_b32_e32 v81, v83
	v_pk_add_f32 v[82:83], v[62:63], v[70:71]
	v_pk_add_f32 v[62:63], v[62:63], v[70:71] neg_lo:[0,1] neg_hi:[0,1]
	v_pk_add_f32 v[70:71], v[0:1], v[70:71]
	v_pk_add_f32 v[0:1], v[52:53], v[72:73] neg_lo:[0,1] neg_hi:[0,1]
	v_pk_add_f32 v[64:65], v[80:81], v[58:59] neg_lo:[0,1] neg_hi:[0,1]
	v_mov_b32_e32 v2, v1
	v_pk_add_f32 v[56:57], v[0:1], v[2:3]
	ds_read2st64_b64 v[0:3], v50 offset1:2
	v_pk_add_f32 v[86:87], v[74:75], v[66:67] neg_lo:[0,1] neg_hi:[0,1]
	v_mov_b32_e32 v55, v53
	v_pk_add_f32 v[64:65], v[64:65], v[86:87]
	v_pk_add_f32 v[86:87], v[58:59], v[66:67]
	v_pk_add_f32 v[88:89], v[80:81], v[74:75] neg_lo:[0,1] neg_hi:[0,1]
	v_fma_f32 v34, -0.5, v82, v78
	v_fma_f32 v51, -0.5, v83, v49
	v_pk_add_f32 v[82:83], v[84:85], v[54:55] neg_lo:[0,1] neg_hi:[0,1]
	v_mov_b32_e32 v57, v62
	s_waitcnt lgkmcnt(0)
	v_pk_fma_f32 v[86:87], v[86:87], 0.5, v[0:1] op_sel_hi:[1,0,1] neg_lo:[1,0,0] neg_hi:[1,0,0]
	v_pk_mul_f32 v[90:91], v[88:89], s[10:11] op_sel_hi:[1,0]
	v_mov_b32_e32 v77, v63
	v_pk_mul_f32 v[56:57], v[56:57], s[4:5]
	v_fmamk_f32 v7, v82, 0x3f737871, v51
	v_pk_add_f32 v[92:93], v[86:87], v[90:91] op_sel:[0,1] op_sel_hi:[1,0] neg_lo:[0,1] neg_hi:[0,1]
	v_pk_add_f32 v[86:87], v[86:87], v[90:91] op_sel:[0,1] op_sel_hi:[1,0]
	v_pk_add_f32 v[90:91], v[58:59], v[66:67] neg_lo:[0,1] neg_hi:[0,1]
	v_pk_mul_f32 v[76:77], v[76:77], s[4:5]
	v_fmamk_f32 v5, v83, 0xbf737871, v34
	v_add_f32_e32 v7, v57, v7
	v_pk_mul_f32 v[94:95], v[90:91], s[12:13] op_sel_hi:[1,0]
	v_sub_f32_e32 v5, v5, v77
	v_add_f32_e32 v10, v56, v7
	v_pk_add_f32 v[86:87], v[86:87], v[94:95] op_sel:[0,1] op_sel_hi:[1,0]
	v_pk_add_f32 v[92:93], v[92:93], v[94:95] op_sel:[0,1] op_sel_hi:[1,0] neg_lo:[0,1] neg_hi:[0,1]
	v_pk_mul_f32 v[94:95], v[10:11], s[14:15] op_sel_hi:[0,1]
	v_add_f32_e32 v10, v76, v5
	v_pk_add_f32 v[60:61], v[68:69], v[60:61] neg_lo:[0,1] neg_hi:[0,1]
	v_pk_fma_f32 v[96:97], v[10:11], s[16:17], v[94:95] neg_lo:[0,0,1] neg_hi:[0,0,1]
	v_pk_fma_f32 v[94:95], v[10:11], s[16:17], v[94:95] op_sel_hi:[0,1,1]
	v_lshrrev_b32_e32 v5, 6, v16
	v_mov_b32_e32 v10, v61
	v_pk_add_f32 v[52:53], v[72:73], v[52:53] neg_lo:[0,1] neg_hi:[0,1]
	v_mul_u32_u24_e32 v5, 0x280, v5
	v_pk_add_f32 v[60:61], v[60:61], v[10:11]
	v_mov_b32_e32 v10, v53
	v_or_b32_e32 v5, v5, v18
	v_pk_add_f32 v[70:71], v[70:71], v[54:55]
	v_pk_add_f32 v[54:55], v[84:85], v[54:55]
	;; [unrolled: 1-line block ×3, first 2 shown]
	v_lshl_add_u32 v79, v5, 3, 0
	v_mov_b32_e32 v5, v78
	v_fmac_f32_e32 v49, -0.5, v55
	v_mov_b32_e32 v53, v82
	v_fmac_f32_e32 v5, -0.5, v54
	v_fmamk_f32 v9, v62, 0xbf737871, v49
	v_mov_b32_e32 v61, v83
	v_pk_mul_f32 v[52:53], v[52:53], s[4:5]
	v_fmamk_f32 v7, v63, 0x3f737871, v5
	v_pk_mul_f32 v[60:61], v[60:61], s[4:5]
	v_add_f32_e32 v9, v53, v9
	v_mov_b32_e32 v97, v95
	v_pk_add_f32 v[94:95], v[0:1], v[80:81]
	v_fmac_f32_e32 v5, 0xbf737871, v63
	v_fmac_f32_e32 v49, 0x3f737871, v62
	v_pk_add_f32 v[54:55], v[58:59], v[80:81] neg_lo:[0,1] neg_hi:[0,1]
	v_pk_add_f32 v[62:63], v[66:67], v[74:75] neg_lo:[0,1] neg_hi:[0,1]
	v_sub_f32_e32 v7, v7, v61
	s_mov_b32 s11, s4
	v_add_f32_e32 v10, v52, v9
	v_pk_add_f32 v[94:95], v[94:95], v[58:59]
	v_pk_add_f32 v[54:55], v[54:55], v[62:63]
	v_pk_mul_f32 v[62:63], v[10:11], s[10:11] op_sel_hi:[0,1]
	v_add_f32_e32 v10, v60, v7
	v_add_f32_e32 v5, v61, v5
	v_pk_add_f32 v[94:95], v[94:95], v[66:67]
	v_pk_fma_f32 v[66:67], v[10:11], s[18:19], v[62:63] neg_lo:[0,0,1] neg_hi:[0,0,1]
	v_pk_fma_f32 v[62:63], v[10:11], s[18:19], v[62:63] op_sel_hi:[0,1,1]
	v_add_f32_e32 v10, v60, v5
	v_sub_f32_e32 v5, v49, v53
	v_add_f32_e32 v22, v52, v5
	v_mov_b32_e32 v21, v33
	v_mov_b32_e32 v5, v41
	;; [unrolled: 1-line block ×6, first 2 shown]
	v_pk_mul_f32 v[48:49], v[22:23], s[10:11] op_sel_hi:[0,1]
	v_mov_b32_e32 v7, v45
	v_pk_add_f32 v[44:45], v[32:33], v[40:41] neg_lo:[0,1] neg_hi:[0,1]
	v_mov_b32_e32 v31, v11
	v_mov_b32_e32 v39, v35
	v_pk_fma_f32 v[48:49], v[10:11], s[20:21], v[48:49] op_sel_hi:[0,1,1] neg_lo:[0,0,1] neg_hi:[0,0,1]
	v_mov_b32_e32 v10, v45
	v_pk_add_f32 v[32:33], v[40:41], v[32:33] neg_lo:[0,1] neg_hi:[0,1]
	v_mov_b32_e32 v27, v23
	v_pk_add_f32 v[40:41], v[30:31], v[38:39]
	v_mov_b32_e32 v36, v35
	v_mov_b32_e32 v24, v23
	v_pk_add_f32 v[44:45], v[44:45], v[10:11]
	v_mov_b32_e32 v10, v33
	;; [unrolled: 3-line block ×3, first 2 shown]
	v_pk_add_f32 v[22:23], v[36:37], v[24:25] neg_lo:[0,1] neg_hi:[0,1]
	v_mov_b32_e32 v9, v47
	v_pk_add_f32 v[32:33], v[32:33], v[10:11]
	v_pk_add_f32 v[46:47], v[26:27], v[28:29]
	v_pk_add_f32 v[26:27], v[26:27], v[28:29] neg_lo:[0,1] neg_hi:[0,1]
	v_pk_add_f32 v[28:29], v[40:41], v[28:29]
	v_pk_add_f32 v[40:41], v[38:39], v[42:43] neg_lo:[0,1] neg_hi:[0,1]
	v_pk_add_f32 v[38:39], v[38:39], v[42:43]
	v_mov_b32_e32 v10, v23
	v_pk_add_f32 v[24:25], v[24:25], v[36:37] neg_lo:[0,1] neg_hi:[0,1]
	v_pk_add_f32 v[28:29], v[28:29], v[42:43]
	v_pk_add_f32 v[22:23], v[22:23], v[10:11]
	v_fma_f32 v43, -0.5, v47, v11
	v_fmac_f32_e32 v11, -0.5, v39
	v_mov_b32_e32 v10, v25
	v_fmac_f32_e32 v51, 0xbf737871, v82
	v_pk_add_f32 v[24:25], v[24:25], v[10:11]
	v_fmac_f32_e32 v34, 0x3f737871, v83
	v_mov_b32_e32 v42, v30
	v_fmamk_f32 v37, v40, 0x3f737871, v43
	v_fmac_f32_e32 v43, 0xbf737871, v40
	v_mov_b32_e32 v25, v40
	v_mov_b32_e32 v23, v26
	v_fmamk_f32 v40, v26, 0xbf737871, v11
	v_fmac_f32_e32 v11, 0x3f737871, v26
	v_sub_f32_e32 v26, v51, v57
	v_fmac_f32_e32 v42, -0.5, v38
	v_add_f32_e32 v10, v77, v34
	v_add_f32_e32 v26, v56, v26
	v_mov_b32_e32 v45, v27
	v_fmamk_f32 v38, v27, 0x3f737871, v42
	v_fmac_f32_e32 v42, 0xbf737871, v27
	v_add_f32_e32 v10, v76, v10
	v_pk_mul_f32 v[26:27], v[26:27], s[14:15] op_sel_hi:[0,1]
	v_pk_add_f32 v[58:59], v[80:81], v[74:75]
	v_fma_f32 v35, -0.5, v46, v30
	v_pk_fma_f32 v[26:27], v[10:11], s[22:23], v[26:27] op_sel_hi:[0,1,1] neg_lo:[0,0,1] neg_hi:[0,0,1]
	v_lshrrev_b32_e32 v10, 6, v17
	v_pk_fma_f32 v[0:1], v[58:59], 0.5, v[0:1] op_sel_hi:[1,0,1] neg_lo:[1,0,0] neg_hi:[1,0,0]
	v_pk_mul_f32 v[58:59], v[90:91], s[10:11] op_sel_hi:[1,0]
	v_fmamk_f32 v36, v41, 0xbf737871, v35
	v_fmac_f32_e32 v35, 0x3f737871, v41
	v_mul_u32_u24_e32 v10, 0x280, v10
	v_pk_mul_f32 v[30:31], v[44:45], s[4:5]
	v_mov_b32_e32 v67, v63
	v_pk_add_f32 v[62:63], v[0:1], v[58:59] op_sel:[0,1] op_sel_hi:[1,0]
	v_pk_add_f32 v[0:1], v[0:1], v[58:59] op_sel:[0,1] op_sel_hi:[1,0] neg_lo:[0,1] neg_hi:[0,1]
	v_pk_mul_f32 v[58:59], v[88:89], s[12:13] op_sel_hi:[1,0]
	v_mov_b32_e32 v33, v41
	v_or_b32_e32 v17, v10, v18
	v_sub_f32_e32 v10, v36, v31
	v_add_f32_e32 v18, v31, v35
	v_pk_add_f32 v[0:1], v[0:1], v[58:59] op_sel:[0,1] op_sel_hi:[1,0]
	v_pk_add_f32 v[58:59], v[62:63], v[58:59] op_sel:[0,1] op_sel_hi:[1,0] neg_lo:[0,1] neg_hi:[0,1]
	v_add_f32_e32 v10, v30, v10
	v_add_f32_e32 v18, v30, v18
	v_pk_mul_f32 v[30:31], v[32:33], s[4:5]
	v_mov_b32_e32 v99, v87
	v_mov_b32_e32 v53, v1
	;; [unrolled: 1-line block ×4, first 2 shown]
	v_sub_f32_e32 v32, v38, v31
	v_add_f32_e32 v31, v31, v42
	v_pk_mul_f32 v[22:23], v[22:23], s[4:5]
	v_pk_add_f32 v[94:95], v[94:95], v[74:75]
	v_mov_b32_e32 v98, v92
	v_mov_b32_e32 v52, v58
	v_pk_fma_f32 v[0:1], v[54:55], s[4:5], v[0:1] op_sel_hi:[1,0,1]
	v_add_f32_e32 v32, v30, v32
	v_add_f32_e32 v30, v30, v31
	;; [unrolled: 1-line block ×3, first 2 shown]
	v_pk_fma_f32 v[36:37], v[64:65], s[4:5], v[86:87] op_sel_hi:[1,0,1]
	v_pk_fma_f32 v[98:99], v[64:65], s[4:5], v[98:99] op_sel_hi:[1,0,1]
	;; [unrolled: 1-line block ×3, first 2 shown]
	v_pk_add_f32 v[58:59], v[0:1], v[48:49]
	v_sub_f32_e32 v23, v43, v23
	v_pk_add_f32 v[42:43], v[94:95], v[70:71] neg_lo:[0,1] neg_hi:[0,1]
	v_pk_add_f32 v[44:45], v[36:37], v[26:27]
	v_pk_add_f32 v[0:1], v[0:1], v[48:49] neg_lo:[0,1] neg_hi:[0,1]
	v_pk_add_f32 v[26:27], v[36:37], v[26:27] neg_lo:[0,1] neg_hi:[0,1]
	s_barrier
	ds_write2st64_b64 v79, v[44:45], v[42:43] offset0:4 offset1:5
	v_pk_add_f32 v[44:45], v[98:99], v[96:97] neg_lo:[0,1] neg_hi:[0,1]
	v_pk_add_f32 v[46:47], v[52:53], v[66:67] neg_lo:[0,1] neg_hi:[0,1]
	ds_write2st64_b64 v79, v[0:1], v[26:27] offset0:8 offset1:9
	v_pk_add_f32 v[0:1], v[8:9], v[20:21]
	v_pk_add_f32 v[26:27], v[6:7], v[4:5] neg_lo:[0,1] neg_hi:[0,1]
	v_pk_add_f32 v[54:55], v[52:53], v[66:67]
	ds_write2st64_b64 v79, v[44:45], v[46:47] offset0:6 offset1:7
	v_pk_fma_f32 v[0:1], v[0:1], 0.5, v[2:3] op_sel_hi:[1,0,1] neg_lo:[1,0,0] neg_hi:[1,0,0]
	v_pk_mul_f32 v[36:37], v[26:27], s[10:11] op_sel_hi:[1,0]
	v_pk_add_f32 v[44:45], v[8:9], v[20:21] neg_lo:[0,1] neg_hi:[0,1]
	v_pk_add_f32 v[48:49], v[6:7], v[8:9] neg_lo:[0,1] neg_hi:[0,1]
	;; [unrolled: 1-line block ×3, first 2 shown]
	v_add_f32_e32 v34, v22, v31
	v_pk_add_f32 v[38:39], v[2:3], v[6:7]
	v_pk_mul_f32 v[24:25], v[24:25], s[4:5]
	v_pk_mul_f32 v[46:47], v[44:45], s[12:13] op_sel_hi:[1,0]
	v_pk_add_f32 v[48:49], v[48:49], v[52:53]
	v_pk_add_f32 v[52:53], v[0:1], v[36:37] op_sel:[0,1] op_sel_hi:[1,0] neg_lo:[0,1] neg_hi:[0,1]
	v_pk_add_f32 v[0:1], v[0:1], v[36:37] op_sel:[0,1] op_sel_hi:[1,0]
	v_add_f32_e32 v22, v22, v23
	v_pk_add_f32 v[38:39], v[38:39], v[8:9]
	v_add_f32_e32 v23, v25, v40
	v_sub_f32_e32 v11, v11, v25
	v_pk_add_f32 v[0:1], v[0:1], v[46:47] op_sel:[0,1] op_sel_hi:[1,0]
	v_pk_add_f32 v[36:37], v[52:53], v[46:47] op_sel:[0,1] op_sel_hi:[1,0] neg_lo:[0,1] neg_hi:[0,1]
	v_pk_mul_f32 v[34:35], v[34:35], s[14:15] op_sel_hi:[0,1]
	v_pk_add_f32 v[38:39], v[38:39], v[20:21]
	v_add_f32_e32 v40, v24, v23
	v_add_f32_e32 v24, v24, v11
	v_mov_b32_e32 v46, v36
	v_mov_b32_e32 v47, v1
	v_pk_fma_f32 v[52:53], v[10:11], s[16:17], v[34:35] neg_lo:[0,0,1] neg_hi:[0,0,1]
	v_pk_fma_f32 v[10:11], v[10:11], s[16:17], v[34:35] op_sel_hi:[0,1,1]
	v_pk_add_f32 v[38:39], v[38:39], v[4:5]
	v_pk_fma_f32 v[46:47], v[48:49], s[4:5], v[46:47] op_sel_hi:[1,0,1]
	v_mov_b32_e32 v53, v11
	v_pk_add_f32 v[100:101], v[94:95], v[70:71]
	v_pk_add_f32 v[102:103], v[98:99], v[96:97]
	v_lshl_add_u32 v17, v17, 3, 0
	v_pk_add_f32 v[42:43], v[38:39], v[28:29]
	v_pk_add_f32 v[10:11], v[46:47], v[52:53]
	ds_write2st64_b64 v79, v[100:101], v[102:103] offset1:1
	ds_write2st64_b64 v79, v[54:55], v[58:59] offset0:2 offset1:3
	ds_write2st64_b64 v17, v[42:43], v[10:11] offset1:1
	v_pk_add_f32 v[10:11], v[6:7], v[4:5]
	v_pk_add_f32 v[6:7], v[8:9], v[6:7] neg_lo:[0,1] neg_hi:[0,1]
	v_pk_add_f32 v[4:5], v[20:21], v[4:5] neg_lo:[0,1] neg_hi:[0,1]
	v_pk_fma_f32 v[2:3], v[10:11], 0.5, v[2:3] op_sel_hi:[1,0,1] neg_lo:[1,0,0] neg_hi:[1,0,0]
	v_pk_add_f32 v[4:5], v[6:7], v[4:5]
	v_pk_mul_f32 v[6:7], v[40:41], s[10:11] op_sel_hi:[0,1]
	v_pk_fma_f32 v[8:9], v[32:33], s[18:19], v[6:7] neg_lo:[0,0,1] neg_hi:[0,0,1]
	v_pk_fma_f32 v[6:7], v[32:33], s[18:19], v[6:7] op_sel_hi:[0,1,1]
	v_mov_b32_e32 v9, v7
	v_pk_mul_f32 v[6:7], v[44:45], s[10:11] op_sel_hi:[1,0]
	v_pk_mul_f32 v[10:11], v[26:27], s[12:13] op_sel_hi:[1,0]
	v_pk_add_f32 v[20:21], v[2:3], v[6:7] op_sel:[0,1] op_sel_hi:[1,0]
	v_pk_add_f32 v[2:3], v[2:3], v[6:7] op_sel:[0,1] op_sel_hi:[1,0] neg_lo:[0,1] neg_hi:[0,1]
	v_pk_add_f32 v[6:7], v[20:21], v[10:11] op_sel:[0,1] op_sel_hi:[1,0] neg_lo:[0,1] neg_hi:[0,1]
	v_pk_add_f32 v[2:3], v[2:3], v[10:11] op_sel:[0,1] op_sel_hi:[1,0]
	v_mov_b32_e32 v10, v6
	v_mov_b32_e32 v11, v3
	v_pk_mul_f32 v[24:25], v[24:25], s[10:11] op_sel_hi:[0,1]
	v_mov_b32_e32 v3, v7
	v_pk_fma_f32 v[10:11], v[4:5], s[4:5], v[10:11] op_sel_hi:[1,0,1]
	v_pk_fma_f32 v[24:25], v[30:31], s[20:21], v[24:25] op_sel_hi:[0,1,1] neg_lo:[0,0,1] neg_hi:[0,0,1]
	v_pk_fma_f32 v[2:3], v[4:5], s[4:5], v[2:3] op_sel_hi:[1,0,1]
	v_pk_add_f32 v[20:21], v[10:11], v[8:9]
	v_pk_add_f32 v[4:5], v[2:3], v[24:25]
	ds_write2st64_b64 v17, v[20:21], v[4:5] offset0:2 offset1:3
	v_pk_mul_f32 v[4:5], v[22:23], s[14:15] op_sel_hi:[0,1]
	v_mov_b32_e32 v1, v37
	v_pk_fma_f32 v[4:5], v[18:19], s[22:23], v[4:5] op_sel_hi:[0,1,1] neg_lo:[0,0,1] neg_hi:[0,0,1]
	v_pk_fma_f32 v[0:1], v[48:49], s[4:5], v[0:1] op_sel_hi:[1,0,1]
	v_pk_add_f32 v[2:3], v[2:3], v[24:25] neg_lo:[0,1] neg_hi:[0,1]
	v_pk_add_f32 v[6:7], v[0:1], v[4:5]
	v_pk_add_f32 v[0:1], v[0:1], v[4:5] neg_lo:[0,1] neg_hi:[0,1]
	ds_write2st64_b64 v17, v[2:3], v[0:1] offset0:8 offset1:9
	v_mul_u32_u24_e32 v0, 3, v16
	v_lshlrev_b32_e32 v18, 3, v0
	v_pk_add_f32 v[20:21], v[38:39], v[28:29] neg_lo:[0,1] neg_hi:[0,1]
	v_lshl_add_u64 v[28:29], s[8:9], 0, v[18:19]
	s_mov_b64 s[10:11], 0x1fe0
	ds_write2st64_b64 v17, v[6:7], v[20:21] offset0:4 offset1:5
	v_pk_add_f32 v[6:7], v[46:47], v[52:53] neg_lo:[0,1] neg_hi:[0,1]
	v_pk_add_f32 v[8:9], v[10:11], v[8:9] neg_lo:[0,1] neg_hi:[0,1]
	s_mov_b64 s[4:5], 0x13e0
	v_lshl_add_u64 v[2:3], v[28:29], 0, s[10:11]
	s_mov_b64 s[10:11], 0x2be0
	ds_write2st64_b64 v17, v[6:7], v[8:9] offset0:6 offset1:7
	s_waitcnt lgkmcnt(0)
	s_barrier
	v_lshl_add_u64 v[0:1], v[28:29], 0, s[4:5]
	v_lshl_add_u64 v[4:5], v[28:29], 0, s[10:11]
	global_load_dwordx2 v[40:41], v[2:3], off offset:16
	global_load_dwordx2 v[42:43], v[0:1], off offset:16
	;; [unrolled: 1-line block ×3, first 2 shown]
	s_movk_i32 s10, 0x3000
	v_add_co_u32_e32 v0, vcc, s10, v28
	v_add_u32_e32 v18, 0x3000, v18
	s_movk_i32 s12, 0x1000
	v_addc_co_u32_e32 v1, vcc, 0, v29, vcc
	v_lshl_add_u64 v[36:37], s[8:9], 0, v[18:19]
	v_add_co_u32_e32 v4, vcc, s12, v36
	global_load_dwordx4 v[0:3], v[0:1], off offset:2016
	s_nop 0
	v_addc_co_u32_e32 v5, vcc, 0, v37, vcc
	global_load_dwordx4 v[4:7], v[4:5], off offset:992
	s_movk_i32 s8, 0x2000
	v_add_co_u32_e32 v8, vcc, s8, v28
	s_mov_b64 s[8:9], 0x37e0
	s_nop 0
	v_addc_co_u32_e32 v9, vcc, 0, v29, vcc
	global_load_dwordx4 v[8:11], v[8:9], off offset:3040
	v_add_co_u32_e32 v30, vcc, s12, v28
	v_lshl_add_u64 v[44:45], v[36:37], 0, s[4:5]
	s_nop 0
	v_addc_co_u32_e32 v31, vcc, 0, v29, vcc
	global_load_dwordx4 v[20:23], v[30:31], off offset:4064
	global_load_dwordx4 v[24:27], v[30:31], off offset:992
	v_lshl_add_u64 v[28:29], v[28:29], 0, s[8:9]
	global_load_dwordx2 v[52:53], v[28:29], off offset:16
	ds_read2st64_b64 v[28:31], v50 offset0:28 offset1:30
	ds_read2st64_b64 v[32:35], v50 offset0:12 offset1:14
	global_load_dwordx2 v[54:55], v[44:45], off offset:16
	ds_read2st64_b64 v[36:39], v50 offset0:32 offset1:34
	s_waitcnt vmcnt(8) lgkmcnt(2)
	v_pk_mul_f32 v[44:45], v[42:43], v[30:31] op_sel:[0,1]
	s_nop 0
	v_pk_fma_f32 v[56:57], v[42:43], v[30:31], v[44:45] op_sel:[0,0,1] op_sel_hi:[1,1,0]
	v_pk_fma_f32 v[30:31], v[42:43], v[30:31], v[44:45] op_sel:[0,0,1] op_sel_hi:[1,0,0] neg_lo:[1,0,0] neg_hi:[1,0,0]
	s_waitcnt lgkmcnt(0)
	v_pk_mul_f32 v[42:43], v[36:37], v[40:41] op_sel:[0,1]
	s_waitcnt vmcnt(7)
	v_pk_mul_f32 v[60:61], v[38:39], v[48:49] op_sel:[0,1]
	v_pk_fma_f32 v[58:59], v[36:37], v[40:41], v[42:43] op_sel:[0,0,1] op_sel_hi:[1,1,0]
	v_pk_fma_f32 v[36:37], v[36:37], v[40:41], v[42:43] op_sel:[0,0,1] op_sel_hi:[1,0,0] neg_lo:[0,0,1] neg_hi:[0,0,1]
	ds_read2st64_b64 v[40:43], v50 offset0:16 offset1:18
	ds_read2st64_b64 v[44:47], v50 offset0:24 offset1:26
	v_pk_fma_f32 v[62:63], v[38:39], v[48:49], v[60:61] op_sel:[0,0,1] op_sel_hi:[1,1,0]
	v_pk_fma_f32 v[38:39], v[38:39], v[48:49], v[60:61] op_sel:[0,0,1] op_sel_hi:[1,0,0] neg_lo:[0,0,1] neg_hi:[0,0,1]
	v_mov_b32_e32 v57, v31
	v_mov_b32_e32 v59, v37
	s_waitcnt vmcnt(6) lgkmcnt(1)
	v_pk_mul_f32 v[48:49], v[40:41], v[0:1] op_sel:[0,1]
	v_mov_b32_e32 v63, v39
	v_pk_fma_f32 v[60:61], v[40:41], v[0:1], v[48:49] op_sel:[0,0,1] op_sel_hi:[1,1,0]
	v_pk_fma_f32 v[40:41], v[40:41], v[0:1], v[48:49] op_sel:[0,0,1] op_sel_hi:[1,0,0] neg_lo:[0,0,1] neg_hi:[0,0,1]
	s_waitcnt vmcnt(5)
	v_pk_mul_f32 v[0:1], v[42:43], v[4:5] op_sel:[0,1]
	v_mov_b32_e32 v61, v41
	v_pk_fma_f32 v[48:49], v[42:43], v[4:5], v[0:1] op_sel:[0,0,1] op_sel_hi:[1,1,0]
	v_pk_fma_f32 v[42:43], v[42:43], v[4:5], v[0:1] op_sel:[0,0,1] op_sel_hi:[1,0,0] neg_lo:[0,0,1] neg_hi:[0,0,1]
	v_mov_b32_e32 v0, v7
	v_pk_mul_f32 v[0:1], v[28:29], v[0:1] op_sel_hi:[1,0]
	v_mov_b32_e32 v49, v43
	v_pk_fma_f32 v[64:65], v[28:29], v[6:7], v[0:1] op_sel:[0,0,1] op_sel_hi:[1,1,0]
	v_pk_fma_f32 v[28:29], v[28:29], v[6:7], v[0:1] op_sel:[0,0,1] op_sel_hi:[1,0,0] neg_lo:[0,0,1] neg_hi:[0,0,1]
	v_mov_b32_e32 v0, v3
	s_waitcnt lgkmcnt(0)
	v_pk_mul_f32 v[0:1], v[46:47], v[0:1] op_sel_hi:[1,0]
	s_waitcnt vmcnt(3)
	v_pk_mul_f32 v[4:5], v[20:21], v[32:33] op_sel:[0,1]
	v_pk_fma_f32 v[66:67], v[46:47], v[2:3], v[0:1] op_sel:[0,0,1] op_sel_hi:[1,1,0]
	v_pk_fma_f32 v[46:47], v[46:47], v[2:3], v[0:1] op_sel:[0,0,1] op_sel_hi:[1,0,0] neg_lo:[0,0,1] neg_hi:[0,0,1]
	v_mov_b32_e32 v0, v11
	v_pk_mul_f32 v[0:1], v[44:45], v[0:1] op_sel_hi:[1,0]
	v_mov_b32_e32 v65, v29
	v_pk_fma_f32 v[68:69], v[44:45], v[10:11], v[0:1] op_sel:[0,0,1] op_sel_hi:[1,1,0]
	v_pk_fma_f32 v[10:11], v[44:45], v[10:11], v[0:1] op_sel:[0,0,1] op_sel_hi:[1,0,0] neg_lo:[0,0,1] neg_hi:[0,0,1]
	v_pk_mul_f32 v[0:1], v[34:35], v[8:9] op_sel:[0,1]
	v_mov_b32_e32 v69, v11
	v_pk_fma_f32 v[44:45], v[34:35], v[8:9], v[0:1] op_sel:[0,0,1] op_sel_hi:[1,1,0]
	v_pk_fma_f32 v[8:9], v[34:35], v[8:9], v[0:1] op_sel:[0,0,1] op_sel_hi:[1,0,0] neg_lo:[0,0,1] neg_hi:[0,0,1]
	ds_read2st64_b64 v[0:3], v50 offset0:20 offset1:22
	v_pk_fma_f32 v[34:35], v[20:21], v[32:33], v[4:5] op_sel:[0,0,1] op_sel_hi:[1,1,0]
	v_pk_fma_f32 v[20:21], v[20:21], v[32:33], v[4:5] op_sel:[0,0,1] op_sel_hi:[1,0,0] neg_lo:[1,0,0] neg_hi:[1,0,0]
	v_mov_b32_e32 v4, v23
	v_mov_b32_e32 v35, v21
	s_waitcnt lgkmcnt(0)
	v_pk_mul_f32 v[32:33], v[2:3], v[4:5] op_sel_hi:[1,0]
	ds_read2st64_b64 v[4:7], v50 offset0:8 offset1:10
	v_pk_fma_f32 v[70:71], v[2:3], v[22:23], v[32:33] op_sel:[0,0,1] op_sel_hi:[1,1,0]
	v_pk_fma_f32 v[22:23], v[2:3], v[22:23], v[32:33] op_sel:[0,0,1] op_sel_hi:[1,0,0] neg_lo:[0,0,1] neg_hi:[0,0,1]
	s_waitcnt vmcnt(2)
	v_pk_mul_f32 v[2:3], v[26:27], v[0:1] op_sel:[0,1]
	v_mov_b32_e32 v71, v23
	v_pk_fma_f32 v[32:33], v[26:27], v[0:1], v[2:3] op_sel:[0,0,1] op_sel_hi:[1,1,0]
	v_pk_fma_f32 v[26:27], v[26:27], v[0:1], v[2:3] op_sel:[0,0,1] op_sel_hi:[1,0,0] neg_lo:[1,0,0] neg_hi:[1,0,0]
	s_waitcnt lgkmcnt(0)
	v_pk_mul_f32 v[0:1], v[24:25], v[6:7] op_sel:[0,1]
	v_mov_b32_e32 v33, v27
	v_pk_fma_f32 v[72:73], v[24:25], v[6:7], v[0:1] op_sel:[0,0,1] op_sel_hi:[1,1,0]
	v_pk_fma_f32 v[0:1], v[24:25], v[6:7], v[0:1] op_sel:[0,0,1] op_sel_hi:[1,0,0] neg_lo:[1,0,0] neg_hi:[1,0,0]
	v_mov_b32_e32 v45, v9
	v_mov_b32_e32 v73, v1
	ds_read2st64_b64 v[0:3], v50 offset1:2
	v_pk_add_f32 v[22:23], v[72:73], v[56:57] neg_lo:[0,1] neg_hi:[0,1]
	v_pk_add_f32 v[36:37], v[34:35], v[58:59] neg_lo:[0,1] neg_hi:[0,1]
	v_pk_fma_f32 v[6:7], v[72:73], 2.0, v[22:23] op_sel_hi:[1,0,1] neg_lo:[0,0,1] neg_hi:[0,0,1]
	v_mov_b32_e32 v67, v47
	s_waitcnt lgkmcnt(0)
	v_pk_add_f32 v[20:21], v[0:1], v[32:33] neg_lo:[0,1] neg_hi:[0,1]
	v_pk_add_f32 v[30:31], v[2:3], v[70:71] neg_lo:[0,1] neg_hi:[0,1]
	v_pk_fma_f32 v[0:1], v[0:1], 2.0, v[20:21] op_sel_hi:[1,0,1] neg_lo:[0,0,1] neg_hi:[0,0,1]
	v_pk_fma_f32 v[32:33], v[2:3], 2.0, v[30:31] op_sel_hi:[1,0,1] neg_lo:[0,0,1] neg_hi:[0,0,1]
	v_pk_add_f32 v[24:25], v[0:1], v[6:7] neg_lo:[0,1] neg_hi:[0,1]
	ds_read2st64_b64 v[6:9], v50 offset0:36 offset1:38
	v_pk_fma_f32 v[26:27], v[0:1], 2.0, v[24:25] op_sel_hi:[1,0,1] neg_lo:[0,0,1] neg_hi:[0,0,1]
	v_pk_fma_f32 v[0:1], v[34:35], 2.0, v[36:37] op_sel_hi:[1,0,1] neg_lo:[0,0,1] neg_hi:[0,0,1]
	s_waitcnt vmcnt(0) lgkmcnt(0)
	v_pk_mul_f32 v[28:29], v[8:9], v[54:55] op_sel:[0,1]
	v_pk_add_f32 v[34:35], v[32:33], v[0:1] neg_lo:[0,1] neg_hi:[0,1]
	ds_read2st64_b64 v[0:3], v50 offset0:4 offset1:6
	v_pk_mul_f32 v[38:39], v[6:7], v[52:53] op_sel:[0,1]
	v_pk_fma_f32 v[42:43], v[8:9], v[54:55], v[28:29] op_sel:[0,0,1] op_sel_hi:[1,1,0]
	v_pk_fma_f32 v[8:9], v[8:9], v[54:55], v[28:29] op_sel:[0,0,1] op_sel_hi:[1,0,0] neg_lo:[0,0,1] neg_hi:[0,0,1]
	v_pk_fma_f32 v[40:41], v[6:7], v[52:53], v[38:39] op_sel:[0,0,1] op_sel_hi:[1,1,0]
	v_pk_fma_f32 v[6:7], v[6:7], v[52:53], v[38:39] op_sel:[0,0,1] op_sel_hi:[1,0,0] neg_lo:[0,0,1] neg_hi:[0,0,1]
	v_mov_b32_e32 v43, v9
	v_mov_b32_e32 v41, v7
	v_pk_add_f32 v[28:29], v[48:49], v[42:43] neg_lo:[0,1] neg_hi:[0,1]
	v_pk_fma_f32 v[10:11], v[32:33], 2.0, v[34:35] op_sel_hi:[1,0,1] neg_lo:[0,0,1] neg_hi:[0,0,1]
	s_waitcnt lgkmcnt(0)
	v_pk_add_f32 v[32:33], v[0:1], v[68:69] neg_lo:[0,1] neg_hi:[0,1]
	v_pk_add_f32 v[38:39], v[44:45], v[62:63] neg_lo:[0,1] neg_hi:[0,1]
	;; [unrolled: 1-line block ×4, first 2 shown]
	v_pk_fma_f32 v[42:43], v[48:49], 2.0, v[28:29] op_sel_hi:[1,0,1] neg_lo:[0,0,1] neg_hi:[0,0,1]
	v_pk_add_f32 v[48:49], v[20:21], v[22:23] op_sel:[0,1] op_sel_hi:[1,0]
	v_pk_add_f32 v[22:23], v[20:21], v[22:23] op_sel:[0,1] op_sel_hi:[1,0] neg_lo:[0,1] neg_hi:[0,1]
	v_pk_fma_f32 v[0:1], v[0:1], 2.0, v[32:33] op_sel_hi:[1,0,1] neg_lo:[0,0,1] neg_hi:[0,0,1]
	v_pk_fma_f32 v[44:45], v[44:45], 2.0, v[38:39] op_sel_hi:[1,0,1] neg_lo:[0,0,1] neg_hi:[0,0,1]
	;; [unrolled: 1-line block ×4, first 2 shown]
	s_barrier
	v_mov_b32_e32 v49, v23
	ds_write2st64_b64 v50, v[26:27], v[10:11] offset1:2
	v_pk_add_f32 v[10:11], v[30:31], v[36:37] op_sel:[0,1] op_sel_hi:[1,0]
	v_pk_add_f32 v[22:23], v[30:31], v[36:37] op_sel:[0,1] op_sel_hi:[1,0] neg_lo:[0,1] neg_hi:[0,1]
	ds_write2st64_b64 v50, v[24:25], v[34:35] offset0:20 offset1:22
	v_pk_add_f32 v[24:25], v[32:33], v[38:39] op_sel:[0,1] op_sel_hi:[1,0]
	v_pk_add_f32 v[26:27], v[32:33], v[38:39] op_sel:[0,1] op_sel_hi:[1,0] neg_lo:[0,1] neg_hi:[0,1]
	v_pk_add_f32 v[44:45], v[0:1], v[44:45] neg_lo:[0,1] neg_hi:[0,1]
	v_pk_add_f32 v[46:47], v[2:3], v[46:47] neg_lo:[0,1] neg_hi:[0,1]
	;; [unrolled: 1-line block ×3, first 2 shown]
	v_mov_b32_e32 v11, v23
	v_mov_b32_e32 v25, v27
	v_pk_fma_f32 v[0:1], v[0:1], 2.0, v[44:45] op_sel_hi:[1,0,1] neg_lo:[0,0,1] neg_hi:[0,0,1]
	v_pk_fma_f32 v[2:3], v[2:3], 2.0, v[46:47] op_sel_hi:[1,0,1] neg_lo:[0,0,1] neg_hi:[0,0,1]
	;; [unrolled: 1-line block ×5, first 2 shown]
	v_pk_add_f32 v[42:43], v[4:5], v[42:43] neg_lo:[0,1] neg_hi:[0,1]
	ds_write2st64_b64 v50, v[22:23], v[26:27] offset0:12 offset1:14
	ds_write2st64_b64 v50, v[10:11], v[24:25] offset0:32 offset1:34
	;; [unrolled: 1-line block ×3, first 2 shown]
	v_pk_add_f32 v[0:1], v[6:7], v[40:41] op_sel:[0,1] op_sel_hi:[1,0]
	v_pk_add_f32 v[2:3], v[6:7], v[40:41] op_sel:[0,1] op_sel_hi:[1,0] neg_lo:[0,1] neg_hi:[0,1]
	v_pk_fma_f32 v[4:5], v[4:5], 2.0, v[42:43] op_sel_hi:[1,0,1] neg_lo:[0,0,1] neg_hi:[0,0,1]
	v_mov_b32_e32 v1, v3
	v_pk_fma_f32 v[20:21], v[20:21], 2.0, v[48:49] op_sel_hi:[1,0,1] neg_lo:[0,0,1] neg_hi:[0,0,1]
	v_pk_fma_f32 v[2:3], v[6:7], 2.0, v[0:1] op_sel_hi:[1,0,1] neg_lo:[0,0,1] neg_hi:[0,0,1]
	ds_write2st64_b64 v50, v[44:45], v[46:47] offset0:24 offset1:26
	ds_write2st64_b64 v50, v[4:5], v[20:21] offset0:8 offset1:10
	v_pk_add_f32 v[4:5], v[8:9], v[28:29] op_sel:[0,1] op_sel_hi:[1,0]
	v_pk_add_f32 v[6:7], v[8:9], v[28:29] op_sel:[0,1] op_sel_hi:[1,0] neg_lo:[0,1] neg_hi:[0,1]
	s_nop 0
	v_mov_b32_e32 v5, v7
	v_pk_fma_f32 v[6:7], v[8:9], 2.0, v[4:5] op_sel_hi:[1,0,1] neg_lo:[0,0,1] neg_hi:[0,0,1]
	ds_write2st64_b64 v50, v[2:3], v[6:7] offset0:16 offset1:18
	ds_write2st64_b64 v50, v[42:43], v[48:49] offset0:28 offset1:30
	;; [unrolled: 1-line block ×3, first 2 shown]
	s_waitcnt lgkmcnt(0)
	s_barrier
	s_and_saveexec_b64 s[4:5], s[0:1]
	s_cbranch_execz .LBB0_21
; %bb.20:
	v_mul_lo_u32 v0, s3, v14
	v_mul_lo_u32 v1, s2, v15
	v_mad_u64_u32 v[4:5], s[0:1], s2, v14, 0
	v_lshl_add_u32 v10, v16, 3, 0
	v_add3_u32 v5, v5, v1, v0
	ds_read2st64_b64 v[0:3], v10 offset1:2
	v_lshl_add_u64 v[4:5], v[4:5], 3, s[6:7]
	v_mov_b32_e32 v17, v19
	v_lshl_add_u64 v[8:9], v[12:13], 3, v[4:5]
	v_lshl_add_u64 v[4:5], v[16:17], 3, v[8:9]
	s_waitcnt lgkmcnt(0)
	global_store_dwordx2 v[4:5], v[0:1], off
	ds_read2st64_b64 v[4:7], v10 offset0:4 offset1:6
	v_add_u32_e32 v18, 0x80, v16
	v_lshl_add_u64 v[0:1], v[18:19], 3, v[8:9]
	v_add_u32_e32 v18, 0x100, v16
	global_store_dwordx2 v[0:1], v[2:3], off
	v_lshl_add_u64 v[0:1], v[18:19], 3, v[8:9]
	s_waitcnt lgkmcnt(0)
	global_store_dwordx2 v[0:1], v[4:5], off
	ds_read2st64_b64 v[0:3], v10 offset0:8 offset1:10
	v_add_u32_e32 v18, 0x180, v16
	v_lshl_add_u64 v[4:5], v[18:19], 3, v[8:9]
	v_add_u32_e32 v18, 0x200, v16
	global_store_dwordx2 v[4:5], v[6:7], off
	;; [unrolled: 8-line block ×9, first 2 shown]
	v_lshl_add_u64 v[0:1], v[18:19], 3, v[8:9]
	v_add_u32_e32 v18, 0x980, v16
	s_waitcnt lgkmcnt(0)
	global_store_dwordx2 v[0:1], v[4:5], off
	v_lshl_add_u64 v[0:1], v[18:19], 3, v[8:9]
	global_store_dwordx2 v[0:1], v[6:7], off
.LBB0_21:
	s_endpgm
	.section	.rodata,"a",@progbits
	.p2align	6, 0x0
	.amdhsa_kernel fft_rtc_back_len2560_factors_4_4_4_10_4_wgs_128_tpt_128_halfLds_sp_op_CI_CI_unitstride_sbrr_C2R_dirReg
		.amdhsa_group_segment_fixed_size 0
		.amdhsa_private_segment_fixed_size 0
		.amdhsa_kernarg_size 104
		.amdhsa_user_sgpr_count 2
		.amdhsa_user_sgpr_dispatch_ptr 0
		.amdhsa_user_sgpr_queue_ptr 0
		.amdhsa_user_sgpr_kernarg_segment_ptr 1
		.amdhsa_user_sgpr_dispatch_id 0
		.amdhsa_user_sgpr_kernarg_preload_length 0
		.amdhsa_user_sgpr_kernarg_preload_offset 0
		.amdhsa_user_sgpr_private_segment_size 0
		.amdhsa_uses_dynamic_stack 0
		.amdhsa_enable_private_segment 0
		.amdhsa_system_sgpr_workgroup_id_x 1
		.amdhsa_system_sgpr_workgroup_id_y 0
		.amdhsa_system_sgpr_workgroup_id_z 0
		.amdhsa_system_sgpr_workgroup_info 0
		.amdhsa_system_vgpr_workitem_id 0
		.amdhsa_next_free_vgpr 104
		.amdhsa_next_free_sgpr 28
		.amdhsa_accum_offset 104
		.amdhsa_reserve_vcc 1
		.amdhsa_float_round_mode_32 0
		.amdhsa_float_round_mode_16_64 0
		.amdhsa_float_denorm_mode_32 3
		.amdhsa_float_denorm_mode_16_64 3
		.amdhsa_dx10_clamp 1
		.amdhsa_ieee_mode 1
		.amdhsa_fp16_overflow 0
		.amdhsa_tg_split 0
		.amdhsa_exception_fp_ieee_invalid_op 0
		.amdhsa_exception_fp_denorm_src 0
		.amdhsa_exception_fp_ieee_div_zero 0
		.amdhsa_exception_fp_ieee_overflow 0
		.amdhsa_exception_fp_ieee_underflow 0
		.amdhsa_exception_fp_ieee_inexact 0
		.amdhsa_exception_int_div_zero 0
	.end_amdhsa_kernel
	.text
.Lfunc_end0:
	.size	fft_rtc_back_len2560_factors_4_4_4_10_4_wgs_128_tpt_128_halfLds_sp_op_CI_CI_unitstride_sbrr_C2R_dirReg, .Lfunc_end0-fft_rtc_back_len2560_factors_4_4_4_10_4_wgs_128_tpt_128_halfLds_sp_op_CI_CI_unitstride_sbrr_C2R_dirReg
                                        ; -- End function
	.section	.AMDGPU.csdata,"",@progbits
; Kernel info:
; codeLenInByte = 11204
; NumSgprs: 34
; NumVgprs: 104
; NumAgprs: 0
; TotalNumVgprs: 104
; ScratchSize: 0
; MemoryBound: 0
; FloatMode: 240
; IeeeMode: 1
; LDSByteSize: 0 bytes/workgroup (compile time only)
; SGPRBlocks: 4
; VGPRBlocks: 12
; NumSGPRsForWavesPerEU: 34
; NumVGPRsForWavesPerEU: 104
; AccumOffset: 104
; Occupancy: 4
; WaveLimiterHint : 1
; COMPUTE_PGM_RSRC2:SCRATCH_EN: 0
; COMPUTE_PGM_RSRC2:USER_SGPR: 2
; COMPUTE_PGM_RSRC2:TRAP_HANDLER: 0
; COMPUTE_PGM_RSRC2:TGID_X_EN: 1
; COMPUTE_PGM_RSRC2:TGID_Y_EN: 0
; COMPUTE_PGM_RSRC2:TGID_Z_EN: 0
; COMPUTE_PGM_RSRC2:TIDIG_COMP_CNT: 0
; COMPUTE_PGM_RSRC3_GFX90A:ACCUM_OFFSET: 25
; COMPUTE_PGM_RSRC3_GFX90A:TG_SPLIT: 0
	.text
	.p2alignl 6, 3212836864
	.fill 256, 4, 3212836864
	.type	__hip_cuid_ef8e500a1859c720,@object ; @__hip_cuid_ef8e500a1859c720
	.section	.bss,"aw",@nobits
	.globl	__hip_cuid_ef8e500a1859c720
__hip_cuid_ef8e500a1859c720:
	.byte	0                               ; 0x0
	.size	__hip_cuid_ef8e500a1859c720, 1

	.ident	"AMD clang version 19.0.0git (https://github.com/RadeonOpenCompute/llvm-project roc-6.4.0 25133 c7fe45cf4b819c5991fe208aaa96edf142730f1d)"
	.section	".note.GNU-stack","",@progbits
	.addrsig
	.addrsig_sym __hip_cuid_ef8e500a1859c720
	.amdgpu_metadata
---
amdhsa.kernels:
  - .agpr_count:     0
    .args:
      - .actual_access:  read_only
        .address_space:  global
        .offset:         0
        .size:           8
        .value_kind:     global_buffer
      - .offset:         8
        .size:           8
        .value_kind:     by_value
      - .actual_access:  read_only
        .address_space:  global
        .offset:         16
        .size:           8
        .value_kind:     global_buffer
      - .actual_access:  read_only
        .address_space:  global
        .offset:         24
        .size:           8
        .value_kind:     global_buffer
      - .actual_access:  read_only
        .address_space:  global
        .offset:         32
        .size:           8
        .value_kind:     global_buffer
      - .offset:         40
        .size:           8
        .value_kind:     by_value
      - .actual_access:  read_only
        .address_space:  global
        .offset:         48
        .size:           8
        .value_kind:     global_buffer
      - .actual_access:  read_only
        .address_space:  global
        .offset:         56
        .size:           8
        .value_kind:     global_buffer
      - .offset:         64
        .size:           4
        .value_kind:     by_value
      - .actual_access:  read_only
        .address_space:  global
        .offset:         72
        .size:           8
        .value_kind:     global_buffer
      - .actual_access:  read_only
        .address_space:  global
        .offset:         80
        .size:           8
        .value_kind:     global_buffer
      - .actual_access:  read_only
        .address_space:  global
        .offset:         88
        .size:           8
        .value_kind:     global_buffer
      - .actual_access:  write_only
        .address_space:  global
        .offset:         96
        .size:           8
        .value_kind:     global_buffer
    .group_segment_fixed_size: 0
    .kernarg_segment_align: 8
    .kernarg_segment_size: 104
    .language:       OpenCL C
    .language_version:
      - 2
      - 0
    .max_flat_workgroup_size: 128
    .name:           fft_rtc_back_len2560_factors_4_4_4_10_4_wgs_128_tpt_128_halfLds_sp_op_CI_CI_unitstride_sbrr_C2R_dirReg
    .private_segment_fixed_size: 0
    .sgpr_count:     34
    .sgpr_spill_count: 0
    .symbol:         fft_rtc_back_len2560_factors_4_4_4_10_4_wgs_128_tpt_128_halfLds_sp_op_CI_CI_unitstride_sbrr_C2R_dirReg.kd
    .uniform_work_group_size: 1
    .uses_dynamic_stack: false
    .vgpr_count:     104
    .vgpr_spill_count: 0
    .wavefront_size: 64
amdhsa.target:   amdgcn-amd-amdhsa--gfx950
amdhsa.version:
  - 1
  - 2
...

	.end_amdgpu_metadata
